;; amdgpu-corpus repo=ROCm/rocFFT kind=compiled arch=gfx1100 opt=O3
	.text
	.amdgcn_target "amdgcn-amd-amdhsa--gfx1100"
	.amdhsa_code_object_version 6
	.protected	fft_rtc_fwd_len1188_factors_6_11_2_3_3_wgs_198_tpt_66_halfLds_dp_ip_CI_unitstride_sbrr_dirReg ; -- Begin function fft_rtc_fwd_len1188_factors_6_11_2_3_3_wgs_198_tpt_66_halfLds_dp_ip_CI_unitstride_sbrr_dirReg
	.globl	fft_rtc_fwd_len1188_factors_6_11_2_3_3_wgs_198_tpt_66_halfLds_dp_ip_CI_unitstride_sbrr_dirReg
	.p2align	8
	.type	fft_rtc_fwd_len1188_factors_6_11_2_3_3_wgs_198_tpt_66_halfLds_dp_ip_CI_unitstride_sbrr_dirReg,@function
fft_rtc_fwd_len1188_factors_6_11_2_3_3_wgs_198_tpt_66_halfLds_dp_ip_CI_unitstride_sbrr_dirReg: ; @fft_rtc_fwd_len1188_factors_6_11_2_3_3_wgs_198_tpt_66_halfLds_dp_ip_CI_unitstride_sbrr_dirReg
; %bb.0:
	s_load_b128 s[4:7], s[0:1], 0x0
	v_mul_u32_u24_e32 v1, 0x3e1, v0
	s_clause 0x1
	s_load_b64 s[8:9], s[0:1], 0x50
	s_load_b64 s[10:11], s[0:1], 0x18
	v_mov_b32_e32 v3, 0
	v_lshrrev_b32_e32 v4, 16, v1
	s_delay_alu instid0(VALU_DEP_1) | instskip(SKIP_3) | instid1(VALU_DEP_1)
	v_mad_u64_u32 v[1:2], null, s15, 3, v[4:5]
	v_mov_b32_e32 v5, 0
	v_mov_b32_e32 v6, 0
	;; [unrolled: 1-line block ×4, first 2 shown]
	s_waitcnt lgkmcnt(0)
	v_cmp_lt_u64_e64 s2, s[6:7], 2
	v_mov_b32_e32 v9, v1
	s_delay_alu instid0(VALU_DEP_2)
	s_and_b32 vcc_lo, exec_lo, s2
	s_cbranch_vccnz .LBB0_8
; %bb.1:
	s_load_b64 s[2:3], s[0:1], 0x10
	v_dual_mov_b32 v5, 0 :: v_dual_mov_b32 v8, v2
	s_add_u32 s12, s10, 8
	v_dual_mov_b32 v6, 0 :: v_dual_mov_b32 v7, v1
	s_addc_u32 s13, s11, 0
	s_mov_b64 s[16:17], 1
	s_waitcnt lgkmcnt(0)
	s_add_u32 s14, s2, 8
	s_addc_u32 s15, s3, 0
.LBB0_2:                                ; =>This Inner Loop Header: Depth=1
	s_load_b64 s[18:19], s[14:15], 0x0
                                        ; implicit-def: $vgpr9_vgpr10
	s_mov_b32 s2, exec_lo
	s_waitcnt lgkmcnt(0)
	v_or_b32_e32 v4, s19, v8
	s_delay_alu instid0(VALU_DEP_1)
	v_cmpx_ne_u64_e32 0, v[3:4]
	s_xor_b32 s3, exec_lo, s2
	s_cbranch_execz .LBB0_4
; %bb.3:                                ;   in Loop: Header=BB0_2 Depth=1
	v_cvt_f32_u32_e32 v2, s18
	v_cvt_f32_u32_e32 v4, s19
	s_sub_u32 s2, 0, s18
	s_subb_u32 s20, 0, s19
	s_delay_alu instid0(VALU_DEP_1) | instskip(NEXT) | instid1(VALU_DEP_1)
	v_fmac_f32_e32 v2, 0x4f800000, v4
	v_rcp_f32_e32 v2, v2
	s_waitcnt_depctr 0xfff
	v_mul_f32_e32 v2, 0x5f7ffffc, v2
	s_delay_alu instid0(VALU_DEP_1) | instskip(NEXT) | instid1(VALU_DEP_1)
	v_mul_f32_e32 v4, 0x2f800000, v2
	v_trunc_f32_e32 v4, v4
	s_delay_alu instid0(VALU_DEP_1) | instskip(SKIP_1) | instid1(VALU_DEP_2)
	v_fmac_f32_e32 v2, 0xcf800000, v4
	v_cvt_u32_f32_e32 v4, v4
	v_cvt_u32_f32_e32 v2, v2
	s_delay_alu instid0(VALU_DEP_2) | instskip(NEXT) | instid1(VALU_DEP_2)
	v_mul_lo_u32 v9, s2, v4
	v_mul_hi_u32 v10, s2, v2
	v_mul_lo_u32 v11, s20, v2
	s_delay_alu instid0(VALU_DEP_2) | instskip(SKIP_1) | instid1(VALU_DEP_2)
	v_add_nc_u32_e32 v9, v10, v9
	v_mul_lo_u32 v10, s2, v2
	v_add_nc_u32_e32 v9, v9, v11
	s_delay_alu instid0(VALU_DEP_2) | instskip(NEXT) | instid1(VALU_DEP_2)
	v_mul_hi_u32 v11, v2, v10
	v_mul_lo_u32 v12, v2, v9
	v_mul_hi_u32 v13, v2, v9
	v_mul_hi_u32 v14, v4, v10
	v_mul_lo_u32 v10, v4, v10
	v_mul_hi_u32 v15, v4, v9
	v_mul_lo_u32 v9, v4, v9
	v_add_co_u32 v11, vcc_lo, v11, v12
	v_add_co_ci_u32_e32 v12, vcc_lo, 0, v13, vcc_lo
	s_delay_alu instid0(VALU_DEP_2) | instskip(NEXT) | instid1(VALU_DEP_2)
	v_add_co_u32 v10, vcc_lo, v11, v10
	v_add_co_ci_u32_e32 v10, vcc_lo, v12, v14, vcc_lo
	v_add_co_ci_u32_e32 v11, vcc_lo, 0, v15, vcc_lo
	s_delay_alu instid0(VALU_DEP_2) | instskip(NEXT) | instid1(VALU_DEP_2)
	v_add_co_u32 v9, vcc_lo, v10, v9
	v_add_co_ci_u32_e32 v10, vcc_lo, 0, v11, vcc_lo
	s_delay_alu instid0(VALU_DEP_2) | instskip(NEXT) | instid1(VALU_DEP_2)
	v_add_co_u32 v2, vcc_lo, v2, v9
	v_add_co_ci_u32_e32 v4, vcc_lo, v4, v10, vcc_lo
	s_delay_alu instid0(VALU_DEP_2) | instskip(SKIP_1) | instid1(VALU_DEP_3)
	v_mul_hi_u32 v9, s2, v2
	v_mul_lo_u32 v11, s20, v2
	v_mul_lo_u32 v10, s2, v4
	s_delay_alu instid0(VALU_DEP_1) | instskip(SKIP_1) | instid1(VALU_DEP_2)
	v_add_nc_u32_e32 v9, v9, v10
	v_mul_lo_u32 v10, s2, v2
	v_add_nc_u32_e32 v9, v9, v11
	s_delay_alu instid0(VALU_DEP_2) | instskip(NEXT) | instid1(VALU_DEP_2)
	v_mul_hi_u32 v11, v2, v10
	v_mul_lo_u32 v12, v2, v9
	v_mul_hi_u32 v13, v2, v9
	v_mul_hi_u32 v14, v4, v10
	v_mul_lo_u32 v10, v4, v10
	v_mul_hi_u32 v15, v4, v9
	v_mul_lo_u32 v9, v4, v9
	v_add_co_u32 v11, vcc_lo, v11, v12
	v_add_co_ci_u32_e32 v12, vcc_lo, 0, v13, vcc_lo
	s_delay_alu instid0(VALU_DEP_2) | instskip(NEXT) | instid1(VALU_DEP_2)
	v_add_co_u32 v10, vcc_lo, v11, v10
	v_add_co_ci_u32_e32 v10, vcc_lo, v12, v14, vcc_lo
	v_add_co_ci_u32_e32 v11, vcc_lo, 0, v15, vcc_lo
	s_delay_alu instid0(VALU_DEP_2) | instskip(NEXT) | instid1(VALU_DEP_2)
	v_add_co_u32 v9, vcc_lo, v10, v9
	v_add_co_ci_u32_e32 v10, vcc_lo, 0, v11, vcc_lo
	s_delay_alu instid0(VALU_DEP_2) | instskip(NEXT) | instid1(VALU_DEP_2)
	v_add_co_u32 v2, vcc_lo, v2, v9
	v_add_co_ci_u32_e32 v4, vcc_lo, v4, v10, vcc_lo
	s_delay_alu instid0(VALU_DEP_2) | instskip(SKIP_1) | instid1(VALU_DEP_3)
	v_mul_hi_u32 v15, v7, v2
	v_mad_u64_u32 v[11:12], null, v8, v2, 0
	v_mad_u64_u32 v[9:10], null, v7, v4, 0
	;; [unrolled: 1-line block ×3, first 2 shown]
	s_delay_alu instid0(VALU_DEP_2) | instskip(NEXT) | instid1(VALU_DEP_3)
	v_add_co_u32 v2, vcc_lo, v15, v9
	v_add_co_ci_u32_e32 v4, vcc_lo, 0, v10, vcc_lo
	s_delay_alu instid0(VALU_DEP_2) | instskip(NEXT) | instid1(VALU_DEP_2)
	v_add_co_u32 v2, vcc_lo, v2, v11
	v_add_co_ci_u32_e32 v2, vcc_lo, v4, v12, vcc_lo
	v_add_co_ci_u32_e32 v4, vcc_lo, 0, v14, vcc_lo
	s_delay_alu instid0(VALU_DEP_2) | instskip(NEXT) | instid1(VALU_DEP_2)
	v_add_co_u32 v2, vcc_lo, v2, v13
	v_add_co_ci_u32_e32 v4, vcc_lo, 0, v4, vcc_lo
	s_delay_alu instid0(VALU_DEP_2) | instskip(SKIP_1) | instid1(VALU_DEP_3)
	v_mul_lo_u32 v11, s19, v2
	v_mad_u64_u32 v[9:10], null, s18, v2, 0
	v_mul_lo_u32 v12, s18, v4
	s_delay_alu instid0(VALU_DEP_2) | instskip(NEXT) | instid1(VALU_DEP_2)
	v_sub_co_u32 v9, vcc_lo, v7, v9
	v_add3_u32 v10, v10, v12, v11
	s_delay_alu instid0(VALU_DEP_1) | instskip(NEXT) | instid1(VALU_DEP_1)
	v_sub_nc_u32_e32 v11, v8, v10
	v_subrev_co_ci_u32_e64 v11, s2, s19, v11, vcc_lo
	v_add_co_u32 v12, s2, v2, 2
	s_delay_alu instid0(VALU_DEP_1) | instskip(SKIP_3) | instid1(VALU_DEP_3)
	v_add_co_ci_u32_e64 v13, s2, 0, v4, s2
	v_sub_co_u32 v14, s2, v9, s18
	v_sub_co_ci_u32_e32 v10, vcc_lo, v8, v10, vcc_lo
	v_subrev_co_ci_u32_e64 v11, s2, 0, v11, s2
	v_cmp_le_u32_e32 vcc_lo, s18, v14
	s_delay_alu instid0(VALU_DEP_3) | instskip(SKIP_1) | instid1(VALU_DEP_4)
	v_cmp_eq_u32_e64 s2, s19, v10
	v_cndmask_b32_e64 v14, 0, -1, vcc_lo
	v_cmp_le_u32_e32 vcc_lo, s19, v11
	v_cndmask_b32_e64 v15, 0, -1, vcc_lo
	v_cmp_le_u32_e32 vcc_lo, s18, v9
	;; [unrolled: 2-line block ×3, first 2 shown]
	v_cndmask_b32_e64 v16, 0, -1, vcc_lo
	v_cmp_eq_u32_e32 vcc_lo, s19, v11
	s_delay_alu instid0(VALU_DEP_2) | instskip(SKIP_3) | instid1(VALU_DEP_3)
	v_cndmask_b32_e64 v9, v16, v9, s2
	v_cndmask_b32_e32 v11, v15, v14, vcc_lo
	v_add_co_u32 v14, vcc_lo, v2, 1
	v_add_co_ci_u32_e32 v15, vcc_lo, 0, v4, vcc_lo
	v_cmp_ne_u32_e32 vcc_lo, 0, v11
	s_delay_alu instid0(VALU_DEP_2) | instskip(SKIP_1) | instid1(VALU_DEP_2)
	v_dual_cndmask_b32 v10, v15, v13 :: v_dual_cndmask_b32 v11, v14, v12
	v_cmp_ne_u32_e32 vcc_lo, 0, v9
	v_dual_cndmask_b32 v10, v4, v10 :: v_dual_cndmask_b32 v9, v2, v11
.LBB0_4:                                ;   in Loop: Header=BB0_2 Depth=1
	s_and_not1_saveexec_b32 s2, s3
	s_cbranch_execz .LBB0_6
; %bb.5:                                ;   in Loop: Header=BB0_2 Depth=1
	v_cvt_f32_u32_e32 v2, s18
	s_sub_i32 s3, 0, s18
	s_delay_alu instid0(VALU_DEP_1) | instskip(SKIP_2) | instid1(VALU_DEP_1)
	v_rcp_iflag_f32_e32 v2, v2
	s_waitcnt_depctr 0xfff
	v_mul_f32_e32 v2, 0x4f7ffffe, v2
	v_cvt_u32_f32_e32 v2, v2
	s_delay_alu instid0(VALU_DEP_1) | instskip(NEXT) | instid1(VALU_DEP_1)
	v_mul_lo_u32 v4, s3, v2
	v_mul_hi_u32 v4, v2, v4
	s_delay_alu instid0(VALU_DEP_1) | instskip(NEXT) | instid1(VALU_DEP_1)
	v_add_nc_u32_e32 v2, v2, v4
	v_mul_hi_u32 v2, v7, v2
	s_delay_alu instid0(VALU_DEP_1) | instskip(SKIP_1) | instid1(VALU_DEP_2)
	v_mul_lo_u32 v4, v2, s18
	v_add_nc_u32_e32 v9, 1, v2
	v_sub_nc_u32_e32 v4, v7, v4
	s_delay_alu instid0(VALU_DEP_1) | instskip(SKIP_1) | instid1(VALU_DEP_2)
	v_subrev_nc_u32_e32 v10, s18, v4
	v_cmp_le_u32_e32 vcc_lo, s18, v4
	v_cndmask_b32_e32 v4, v4, v10, vcc_lo
	v_mov_b32_e32 v10, v3
	v_cndmask_b32_e32 v2, v2, v9, vcc_lo
	s_delay_alu instid0(VALU_DEP_3) | instskip(NEXT) | instid1(VALU_DEP_2)
	v_cmp_le_u32_e32 vcc_lo, s18, v4
	v_add_nc_u32_e32 v9, 1, v2
	s_delay_alu instid0(VALU_DEP_1)
	v_cndmask_b32_e32 v9, v2, v9, vcc_lo
.LBB0_6:                                ;   in Loop: Header=BB0_2 Depth=1
	s_or_b32 exec_lo, exec_lo, s2
	s_load_b64 s[2:3], s[12:13], 0x0
	v_mul_lo_u32 v2, v10, s18
	s_delay_alu instid0(VALU_DEP_2)
	v_mul_lo_u32 v4, v9, s19
	v_mad_u64_u32 v[11:12], null, v9, s18, 0
	s_add_u32 s16, s16, 1
	s_addc_u32 s17, s17, 0
	s_add_u32 s12, s12, 8
	s_addc_u32 s13, s13, 0
	;; [unrolled: 2-line block ×3, first 2 shown]
	s_delay_alu instid0(VALU_DEP_1) | instskip(SKIP_1) | instid1(VALU_DEP_2)
	v_add3_u32 v2, v12, v4, v2
	v_sub_co_u32 v4, vcc_lo, v7, v11
	v_sub_co_ci_u32_e32 v2, vcc_lo, v8, v2, vcc_lo
	s_waitcnt lgkmcnt(0)
	s_delay_alu instid0(VALU_DEP_2) | instskip(NEXT) | instid1(VALU_DEP_2)
	v_mul_lo_u32 v11, s3, v4
	v_mul_lo_u32 v2, s2, v2
	v_mad_u64_u32 v[7:8], null, s2, v4, v[5:6]
	v_cmp_ge_u64_e64 s2, s[16:17], s[6:7]
	s_delay_alu instid0(VALU_DEP_1) | instskip(NEXT) | instid1(VALU_DEP_2)
	s_and_b32 vcc_lo, exec_lo, s2
	v_add3_u32 v6, v11, v8, v2
	s_delay_alu instid0(VALU_DEP_3)
	v_mov_b32_e32 v5, v7
	s_cbranch_vccnz .LBB0_8
; %bb.7:                                ;   in Loop: Header=BB0_2 Depth=1
	v_dual_mov_b32 v7, v9 :: v_dual_mov_b32 v8, v10
	s_branch .LBB0_2
.LBB0_8:
	s_lshl_b64 s[2:3], s[6:7], 3
                                        ; implicit-def: $vgpr92_vgpr93
                                        ; implicit-def: $vgpr80_vgpr81
                                        ; implicit-def: $vgpr100_vgpr101
                                        ; implicit-def: $vgpr76_vgpr77
                                        ; implicit-def: $vgpr72_vgpr73
                                        ; implicit-def: $vgpr68_vgpr69
                                        ; implicit-def: $vgpr96_vgpr97
                                        ; implicit-def: $vgpr52_vgpr53
                                        ; implicit-def: $vgpr108_vgpr109
                                        ; implicit-def: $vgpr36_vgpr37
                                        ; implicit-def: $vgpr88_vgpr89
                                        ; implicit-def: $vgpr28_vgpr29
                                        ; implicit-def: $vgpr104_vgpr105
                                        ; implicit-def: $vgpr32_vgpr33
                                        ; implicit-def: $vgpr112_vgpr113
                                        ; implicit-def: $vgpr64_vgpr65
                                        ; implicit-def: $vgpr84_vgpr85
                                        ; implicit-def: $vgpr24_vgpr25
	s_delay_alu instid0(SALU_CYCLE_1)
	s_add_u32 s2, s10, s2
	s_addc_u32 s3, s11, s3
	s_load_b64 s[2:3], s[2:3], 0x0
	s_load_b64 s[0:1], s[0:1], 0x20
	s_waitcnt lgkmcnt(0)
	v_mul_lo_u32 v4, s2, v10
	v_mul_lo_u32 v7, s3, v9
	v_mad_u64_u32 v[2:3], null, s2, v9, v[5:6]
	v_mul_hi_u32 v5, 0x3e0f83f, v0
	v_cmp_gt_u64_e32 vcc_lo, s[0:1], v[9:10]
	s_delay_alu instid0(VALU_DEP_3) | instskip(NEXT) | instid1(VALU_DEP_3)
	v_add3_u32 v3, v7, v3, v4
	v_mul_u32_u24_e32 v4, 0x42, v5
	s_delay_alu instid0(VALU_DEP_2) | instskip(NEXT) | instid1(VALU_DEP_2)
	v_lshlrev_b64 v[120:121], 4, v[2:3]
	v_sub_nc_u32_e32 v118, v0, v4
	s_and_saveexec_b32 s1, vcc_lo
	s_cbranch_execz .LBB0_10
; %bb.9:
	v_mov_b32_e32 v119, 0
	s_delay_alu instid0(VALU_DEP_3) | instskip(NEXT) | instid1(VALU_DEP_1)
	v_add_co_u32 v0, s0, s8, v120
	v_add_co_ci_u32_e64 v4, s0, s9, v121, s0
	s_delay_alu instid0(VALU_DEP_3) | instskip(NEXT) | instid1(VALU_DEP_1)
	v_lshlrev_b64 v[2:3], 4, v[118:119]
	v_add_co_u32 v2, s0, v0, v2
	s_delay_alu instid0(VALU_DEP_1) | instskip(NEXT) | instid1(VALU_DEP_2)
	v_add_co_ci_u32_e64 v3, s0, v4, v3, s0
	v_add_co_u32 v4, s0, 0x1000, v2
	s_delay_alu instid0(VALU_DEP_1) | instskip(SKIP_1) | instid1(VALU_DEP_1)
	v_add_co_ci_u32_e64 v5, s0, 0, v3, s0
	v_add_co_u32 v6, s0, 0x2000, v2
	v_add_co_ci_u32_e64 v7, s0, 0, v3, s0
	v_add_co_u32 v8, s0, 0x3000, v2
	s_delay_alu instid0(VALU_DEP_1)
	v_add_co_ci_u32_e64 v9, s0, 0, v3, s0
	v_add_co_u32 v10, s0, 0x4000, v2
	s_clause 0x5
	global_load_b128 v[22:25], v[2:3], off
	global_load_b128 v[26:29], v[2:3], off offset:1056
	global_load_b128 v[62:65], v[4:5], off offset:2240
	;; [unrolled: 1-line block ×5, first 2 shown]
	v_add_co_ci_u32_e64 v11, s0, 0, v3, s0
	s_clause 0xb
	global_load_b128 v[82:85], v[2:3], off offset:3168
	global_load_b128 v[66:69], v[2:3], off offset:2112
	;; [unrolled: 1-line block ×12, first 2 shown]
.LBB0_10:
	s_or_b32 exec_lo, exec_lo, s1
	s_waitcnt vmcnt(3)
	v_add_f64 v[2:3], v[102:103], v[110:111]
	s_waitcnt vmcnt(1)
	v_add_f64 v[4:5], v[94:95], v[106:107]
	;; [unrolled: 2-line block ×3, first 2 shown]
	v_add_f64 v[8:9], v[104:105], v[112:113]
	v_add_f64 v[10:11], v[112:113], -v[104:105]
	v_add_f64 v[12:13], v[96:97], v[108:109]
	v_add_f64 v[14:15], v[108:109], -v[96:97]
	;; [unrolled: 2-line block ×3, first 2 shown]
	s_mov_b32 s2, 0xe8584caa
	s_mov_b32 s3, 0x3febb67a
	;; [unrolled: 1-line block ×4, first 2 shown]
	v_add_f64 v[20:21], v[30:31], v[62:63]
	v_add_f64 v[38:39], v[110:111], -v[102:103]
	v_add_f64 v[40:41], v[50:51], v[34:35]
	v_add_f64 v[42:43], v[106:107], -v[94:95]
	v_add_f64 v[44:45], v[78:79], v[74:75]
	v_add_f64 v[46:47], v[106:107], v[86:87]
	v_add_f64 v[56:57], v[98:99], v[70:71]
	v_add_f64 v[54:55], v[74:75], v[66:67]
	v_add_f64 v[48:49], v[76:77], -v[80:81]
	v_mul_hi_u32 v0, 0xaaaaaaab, v1
	v_cmp_gt_u32_e64 s0, 42, v118
	s_delay_alu instid0(VALU_DEP_2) | instskip(NEXT) | instid1(VALU_DEP_1)
	v_lshrrev_b32_e32 v0, 1, v0
	v_lshl_add_u32 v0, v0, 1, v0
	v_fma_f64 v[2:3], v[2:3], -0.5, v[82:83]
	v_fma_f64 v[4:5], v[4:5], -0.5, v[86:87]
	;; [unrolled: 1-line block ×4, first 2 shown]
	v_sub_nc_u32_e32 v0, v1, v0
	v_lshlrev_b32_e32 v1, 3, v118
	s_delay_alu instid0(VALU_DEP_2) | instskip(SKIP_1) | instid1(VALU_DEP_2)
	v_mul_u32_u24_e32 v0, 0x4a4, v0
	v_fma_f64 v[20:21], v[20:21], -0.5, v[22:23]
	v_lshlrev_b32_e32 v136, 3, v0
	s_delay_alu instid0(VALU_DEP_4) | instskip(SKIP_3) | instid1(VALU_DEP_4)
	v_add_nc_u32_e32 v0, 0, v1
	v_add_f64 v[46:47], v[94:95], v[46:47]
	v_add_f64 v[56:57], v[90:91], v[56:57]
	;; [unrolled: 1-line block ×3, first 2 shown]
	v_add_nc_u32_e32 v135, v0, v136
	v_fma_f64 v[132:133], v[10:11], s[2:3], v[2:3]
	v_fma_f64 v[114:115], v[10:11], s[6:7], v[2:3]
	v_fma_f64 v[2:3], v[12:13], -0.5, v[88:89]
	v_fma_f64 v[130:131], v[14:15], s[2:3], v[4:5]
	v_fma_f64 v[126:127], v[14:15], s[6:7], v[4:5]
	v_add_f64 v[10:11], v[98:99], -v[90:91]
	v_fma_f64 v[4:5], v[16:17], -0.5, v[72:73]
	v_fma_f64 v[128:129], v[18:19], s[2:3], v[6:7]
	v_fma_f64 v[116:117], v[18:19], s[6:7], v[6:7]
	v_add_f64 v[6:7], v[64:65], -v[32:33]
	v_add_f64 v[12:13], v[62:63], v[22:23]
	v_add_f64 v[14:15], v[110:111], v[82:83]
	v_fma_f64 v[70:71], v[38:39], s[6:7], v[8:9]
	v_fma_f64 v[86:87], v[38:39], s[2:3], v[8:9]
	v_add_f64 v[16:17], v[36:37], -v[52:53]
	v_add_f64 v[18:19], v[34:35], v[26:27]
	v_fma_f64 v[22:23], v[40:41], -0.5, v[26:27]
	v_fma_f64 v[40:41], v[44:45], -0.5, v[66:67]
	v_mul_f64 v[8:9], v[132:133], 0.5
	v_mul_f64 v[38:39], v[114:115], -0.5
	v_fma_f64 v[26:27], v[42:43], s[6:7], v[2:3]
	v_fma_f64 v[98:99], v[42:43], s[2:3], v[2:3]
	v_mul_f64 v[2:3], v[130:131], 0.5
	v_mul_f64 v[42:43], v[126:127], -0.5
	v_fma_f64 v[66:67], v[10:11], s[6:7], v[4:5]
	v_fma_f64 v[82:83], v[10:11], s[2:3], v[4:5]
	v_mul_f64 v[4:5], v[128:129], 0.5
	v_mul_f64 v[10:11], v[116:117], -0.5
	v_add_f64 v[12:13], v[30:31], v[12:13]
	v_add_f64 v[44:45], v[102:103], v[14:15]
	v_fma_f64 v[58:59], v[6:7], s[2:3], v[20:21]
	v_fma_f64 v[6:7], v[6:7], s[6:7], v[20:21]
	v_add_f64 v[20:21], v[56:57], v[54:55]
	v_add_f64 v[18:19], v[50:51], v[18:19]
	v_fma_f64 v[90:91], v[16:17], s[2:3], v[22:23]
	v_fma_f64 v[22:23], v[16:17], s[6:7], v[22:23]
	;; [unrolled: 1-line block ×10, first 2 shown]
	v_add_f64 v[14:15], v[44:45], v[12:13]
	v_add_f64 v[40:41], v[12:13], -v[44:45]
	v_add_f64 v[12:13], v[54:55], -v[56:57]
	v_add_f64 v[42:43], v[46:47], v[18:19]
	v_add_f64 v[48:49], v[18:19], -v[46:47]
	v_mul_u32_u24_e32 v18, 6, v118
	v_add_nc_u32_e32 v19, 0, v136
	s_delay_alu instid0(VALU_DEP_1)
	v_add_nc_u32_e32 v134, v19, v1
	v_add_f64 v[16:17], v[58:59], v[8:9]
	v_add_f64 v[38:39], v[6:7], v[60:61]
	v_add_f64 v[54:55], v[58:59], -v[8:9]
	v_add_f64 v[56:57], v[6:7], -v[60:61]
	v_add_f64 v[44:45], v[90:91], v[2:3]
	v_add_f64 v[46:47], v[22:23], v[94:95]
	v_add_f64 v[2:3], v[90:91], -v[2:3]
	v_add_f64 v[4:5], v[22:23], -v[94:95]
	;; [unrolled: 4-line block ×3, first 2 shown]
	v_lshl_add_u32 v102, v18, 3, v19
	v_add_nc_u32_e32 v90, 0x800, v135
	v_add_nc_u32_e32 v91, 0x1000, v135
	;; [unrolled: 1-line block ×6, first 2 shown]
                                        ; implicit-def: $vgpr122_vgpr123
                                        ; implicit-def: $vgpr18_vgpr19
	ds_store_b128 v102, v[14:17]
	ds_store_b128 v102, v[38:41] offset:16
	ds_store_b128 v102, v[54:57] offset:32
	;; [unrolled: 1-line block ×8, first 2 shown]
	s_waitcnt lgkmcnt(0)
	s_barrier
	buffer_gl0_inv
	ds_load_b64 v[124:125], v134
	ds_load_2addr_b64 v[54:57], v135 offset0:108 offset1:216
	ds_load_2addr_b64 v[42:45], v90 offset0:68 offset1:176
	;; [unrolled: 1-line block ×5, first 2 shown]
                                        ; implicit-def: $vgpr14_vgpr15
	s_and_saveexec_b32 s1, s0
	s_cbranch_execz .LBB0_12
; %bb.11:
	v_add_nc_u32_e32 v8, 0xc00, v135
	ds_load_2addr_b64 v[12:15], v94 offset0:74 offset1:182
	ds_load_2addr_b64 v[0:3], v90 offset0:26 offset1:134
	;; [unrolled: 1-line block ×5, first 2 shown]
	ds_load_b64 v[122:123], v135 offset:9168
	s_waitcnt lgkmcnt(4)
	v_dual_mov_b32 v8, v12 :: v_dual_mov_b32 v11, v3
	v_dual_mov_b32 v10, v2 :: v_dual_mov_b32 v23, v1
	s_waitcnt lgkmcnt(3)
	v_dual_mov_b32 v22, v0 :: v_dual_mov_b32 v21, v7
	v_dual_mov_b32 v9, v13 :: v_dual_mov_b32 v20, v6
	s_waitcnt lgkmcnt(2)
	v_mov_b32_e32 v6, v139
	v_dual_mov_b32 v12, v137 :: v_dual_mov_b32 v13, v138
	v_mov_b32_e32 v7, v140
.LBB0_12:
	s_or_b32 exec_lo, exec_lo, s1
	v_add_f64 v[0:1], v[32:33], v[64:65]
	v_add_f64 v[2:3], v[52:53], v[36:37]
	;; [unrolled: 1-line block ×4, first 2 shown]
	v_add_f64 v[30:31], v[62:63], -v[30:31]
	v_add_f64 v[62:63], v[112:113], v[84:85]
	v_mul_f64 v[84:85], v[132:133], s[6:7]
	v_mul_f64 v[86:87], v[86:87], -0.5
	v_add_f64 v[76:77], v[76:77], v[68:69]
	v_add_f64 v[72:73], v[100:101], v[72:73]
	;; [unrolled: 1-line block ×4, first 2 shown]
	s_waitcnt lgkmcnt(0)
	s_barrier
	buffer_gl0_inv
	v_fma_f64 v[0:1], v[0:1], -0.5, v[24:25]
	v_add_f64 v[24:25], v[34:35], -v[50:51]
	v_mul_f64 v[34:35], v[130:131], s[6:7]
	v_fma_f64 v[2:3], v[2:3], -0.5, v[28:29]
	v_mul_f64 v[50:51], v[98:99], -0.5
	v_add_f64 v[28:29], v[74:75], -v[78:79]
	v_mul_f64 v[74:75], v[128:129], s[6:7]
	v_fma_f64 v[68:69], v[110:111], -0.5, v[68:69]
	v_mul_f64 v[78:79], v[82:83], -0.5
	v_add_f64 v[64:65], v[32:33], v[64:65]
	v_add_f64 v[62:63], v[104:105], v[62:63]
	v_fma_f64 v[70:71], v[70:71], 0.5, v[84:85]
	v_fma_f64 v[82:83], v[114:115], s[6:7], v[86:87]
	v_add_f64 v[76:77], v[80:81], v[76:77]
	v_add_f64 v[80:81], v[92:93], v[72:73]
	;; [unrolled: 1-line block ×4, first 2 shown]
                                        ; implicit-def: $vgpr128_vgpr129
	v_fma_f64 v[84:85], v[30:31], s[6:7], v[0:1]
	v_fma_f64 v[0:1], v[30:31], s[2:3], v[0:1]
	v_fma_f64 v[26:27], v[26:27], 0.5, v[34:35]
	v_fma_f64 v[88:89], v[24:25], s[6:7], v[2:3]
	v_fma_f64 v[86:87], v[126:127], s[6:7], v[50:51]
	;; [unrolled: 1-line block ×3, first 2 shown]
	v_fma_f64 v[24:25], v[66:67], 0.5, v[74:75]
	v_fma_f64 v[92:93], v[28:29], s[6:7], v[68:69]
	v_fma_f64 v[78:79], v[116:117], s[6:7], v[78:79]
	;; [unrolled: 1-line block ×3, first 2 shown]
	v_add_f64 v[32:33], v[62:63], v[64:65]
	v_add_f64 v[64:65], v[64:65], -v[62:63]
	v_add_f64 v[50:51], v[80:81], v[76:77]
	v_add_f64 v[30:31], v[76:77], -v[80:81]
	;; [unrolled: 2-line block ×3, first 2 shown]
                                        ; implicit-def: $vgpr36_vgpr37
	v_add_f64 v[34:35], v[84:85], v[70:71]
	v_add_f64 v[62:63], v[0:1], v[82:83]
	v_add_f64 v[74:75], v[84:85], -v[70:71]
	v_add_f64 v[76:77], v[0:1], -v[82:83]
	v_add_f64 v[68:69], v[88:89], v[26:27]
	v_add_f64 v[70:71], v[2:3], v[86:87]
	v_add_f64 v[0:1], v[88:89], -v[26:27]
	v_add_f64 v[2:3], v[2:3], -v[86:87]
	v_add_f64 v[52:53], v[92:93], v[24:25]
	v_add_f64 v[28:29], v[96:97], v[78:79]
	v_add_f64 v[24:25], v[92:93], -v[24:25]
	v_add_f64 v[26:27], v[96:97], -v[78:79]
	ds_store_b128 v102, v[32:35]
	ds_store_b128 v102, v[62:65] offset:16
	ds_store_b128 v102, v[74:77] offset:32
	ds_store_b128 v106, v[66:69]
	ds_store_b128 v106, v[70:73] offset:16
	ds_store_b128 v106, v[0:3] offset:32
	;; [unrolled: 3-line block ×3, first 2 shown]
	s_waitcnt lgkmcnt(0)
	s_barrier
	buffer_gl0_inv
	ds_load_b64 v[0:1], v134
	ds_load_2addr_b64 v[110:113], v135 offset0:108 offset1:216
	ds_load_2addr_b64 v[74:77], v90 offset0:68 offset1:176
	;; [unrolled: 1-line block ×5, first 2 shown]
                                        ; implicit-def: $vgpr32_vgpr33
	s_and_saveexec_b32 s1, s0
	s_cbranch_execz .LBB0_14
; %bb.13:
	v_add_nc_u32_e32 v2, 0x1400, v135
	v_add_nc_u32_e32 v3, 0xc00, v135
	v_add_nc_u32_e32 v24, 0x800, v135
	ds_load_2addr_b64 v[66:69], v135 offset0:66 offset1:174
	ds_load_2addr_b64 v[30:33], v2 offset0:74 offset1:182
	;; [unrolled: 1-line block ×4, first 2 shown]
	v_add_nc_u32_e32 v2, 0x1c00, v135
	s_waitcnt lgkmcnt(3)
	v_mov_b32_e32 v50, v68
	s_waitcnt lgkmcnt(2)
	v_mov_b32_e32 v26, v30
	s_waitcnt lgkmcnt(1)
	v_dual_mov_b32 v24, v72 :: v_dual_mov_b32 v25, v73
	ds_load_b64 v[128:129], v135 offset:9168
	ds_load_2addr_b64 v[34:37], v2 offset0:34 offset1:142
	v_dual_mov_b32 v27, v31 :: v_dual_mov_b32 v30, v70
	s_waitcnt lgkmcnt(2)
	v_mov_b32_e32 v28, v84
	v_mov_b32_e32 v52, v82
	v_dual_mov_b32 v2, v66 :: v_dual_mov_b32 v3, v67
	v_mov_b32_e32 v51, v69
	v_mov_b32_e32 v31, v71
	;; [unrolled: 1-line block ×4, first 2 shown]
.LBB0_14:
	s_or_b32 exec_lo, exec_lo, s1
	v_and_b32_e32 v66, 0xff, v118
	v_add_nc_u32_e32 v132, 0x42, v118
	s_mov_b32 s12, 0xf8bb580b
	s_mov_b32 s24, 0x8eee2c13
	;; [unrolled: 1-line block ×3, first 2 shown]
	v_mul_lo_u16 v66, 0xab, v66
	v_and_b32_e32 v67, 0xff, v132
	s_mov_b32 s6, 0xbb3a28a1
	s_mov_b32 s13, 0xbfe14ced
	;; [unrolled: 1-line block ×3, first 2 shown]
	v_lshrrev_b16 v119, 10, v66
	v_mul_lo_u16 v67, 0xab, v67
	s_mov_b32 s3, 0xbfefac9e
	s_mov_b32 s7, 0xbfe82f19
	;; [unrolled: 1-line block ×3, first 2 shown]
	v_mul_lo_u16 v66, v119, 6
	v_lshrrev_b16 v137, 10, v67
	s_mov_b32 s14, 0x8764f0ba
	s_mov_b32 s22, 0xd9c712b6
	;; [unrolled: 1-line block ×3, first 2 shown]
	v_sub_nc_u16 v66, v118, v66
	v_mul_lo_u16 v67, v137, 6
	s_mov_b32 s30, 0x7f775887
	s_mov_b32 s11, 0xbfd207e7
	s_mov_b32 s21, 0x3fd207e7
	v_and_b32_e32 v133, 0xff, v66
	v_sub_nc_u16 v67, v132, v67
	s_mov_b32 s19, 0x3fefac9e
	s_mov_b32 s17, 0x3fe14ced
	;; [unrolled: 1-line block ×3, first 2 shown]
	v_mul_u32_u24_e32 v66, 10, v133
	v_and_b32_e32 v138, 0xff, v67
	s_mov_b32 s23, 0x3fda9628
	s_mov_b32 s29, 0x3fed1bb4
	;; [unrolled: 1-line block ×3, first 2 shown]
	v_lshlrev_b32_e32 v66, 4, v66
	v_mul_u32_u24_e32 v67, 10, v138
	s_mov_b32 s31, 0xbfe4f49e
	s_mov_b32 s20, s10
	;; [unrolled: 1-line block ×3, first 2 shown]
	s_clause 0x7
	global_load_b128 v[140:143], v66, s[4:5]
	global_load_b128 v[144:147], v66, s[4:5] offset:144
	global_load_b128 v[148:151], v66, s[4:5] offset:16
	;; [unrolled: 1-line block ×7, first 2 shown]
	v_lshlrev_b32_e32 v139, 4, v67
	s_clause 0x1
	global_load_b128 v[90:93], v66, s[4:5] offset:64
	global_load_b128 v[86:89], v66, s[4:5] offset:80
	s_mov_b32 s16, s12
	s_clause 0x2
	global_load_b128 v[106:109], v139, s[4:5]
	global_load_b128 v[66:69], v139, s[4:5] offset:16
	global_load_b128 v[70:73], v139, s[4:5] offset:32
	s_mov_b32 s28, s24
	s_mov_b32 s34, 0x9bcd5057
	;; [unrolled: 1-line block ×3, first 2 shown]
	s_waitcnt vmcnt(12)
	v_mul_f64 v[126:127], v[54:55], v[142:143]
	s_waitcnt vmcnt(11)
	v_mul_f64 v[130:131], v[60:61], v[146:147]
	s_waitcnt vmcnt(10)
	v_mul_f64 v[156:157], v[56:57], v[150:151]
	s_waitcnt vmcnt(9)
	v_mul_f64 v[158:159], v[58:59], v[154:155]
	s_waitcnt lgkmcnt(4)
	v_mul_f64 v[142:143], v[110:111], v[142:143]
	s_waitcnt lgkmcnt(0)
	v_mul_f64 v[146:147], v[116:117], v[146:147]
	s_waitcnt vmcnt(8)
	v_mul_f64 v[160:161], v[42:43], v[96:97]
	s_waitcnt vmcnt(7)
	;; [unrolled: 2-line block ×4, first 2 shown]
	v_mul_f64 v[166:167], v[46:47], v[104:105]
	v_mul_f64 v[150:151], v[112:113], v[150:151]
	;; [unrolled: 1-line block ×3, first 2 shown]
	v_fma_f64 v[126:127], v[110:111], v[140:141], v[126:127]
	v_fma_f64 v[110:111], v[116:117], v[144:145], v[130:131]
	;; [unrolled: 1-line block ×4, first 2 shown]
	v_fma_f64 v[114:115], v[54:55], v[140:141], -v[142:143]
	v_fma_f64 v[130:131], v[60:61], v[144:145], -v[146:147]
	v_mul_f64 v[142:143], v[74:75], v[96:97]
	v_mul_f64 v[144:145], v[80:81], v[100:101]
	v_fma_f64 v[96:97], v[74:75], v[94:95], v[160:161]
	v_fma_f64 v[54:55], v[80:81], v[98:99], v[162:163]
	v_mul_f64 v[80:81], v[76:77], v[84:85]
	v_mul_f64 v[84:85], v[78:79], v[104:105]
	v_fma_f64 v[74:75], v[76:77], v[82:83], v[164:165]
	v_fma_f64 v[60:61], v[78:79], v[102:103], v[166:167]
	v_fma_f64 v[76:77], v[56:57], v[148:149], -v[150:151]
	v_fma_f64 v[78:79], v[58:59], v[152:153], -v[154:155]
	s_waitcnt vmcnt(4)
	v_mul_f64 v[58:59], v[62:63], v[92:93]
	v_mul_f64 v[148:149], v[38:39], v[92:93]
	s_waitcnt vmcnt(3)
	v_mul_f64 v[150:151], v[64:65], v[88:89]
	s_waitcnt vmcnt(1)
	v_mul_f64 v[154:155], v[52:53], v[68:69]
	v_mul_f64 v[68:69], v[22:23], v[68:69]
	s_waitcnt vmcnt(0)
	v_mul_f64 v[158:159], v[28:29], v[72:73]
	v_mul_f64 v[72:73], v[10:11], v[72:73]
	v_add_f64 v[140:141], v[126:127], -v[110:111]
	v_add_f64 v[56:57], v[116:117], -v[112:113]
	v_add_f64 v[104:105], v[114:115], v[130:131]
	v_fma_f64 v[100:101], v[42:43], v[94:95], -v[142:143]
	v_fma_f64 v[98:99], v[48:49], v[98:99], -v[144:145]
	v_mul_f64 v[42:43], v[40:41], v[88:89]
	v_add_f64 v[142:143], v[96:97], -v[54:55]
	v_mul_f64 v[144:145], v[50:51], v[108:109]
	v_mul_f64 v[108:109], v[20:21], v[108:109]
	v_fma_f64 v[92:93], v[44:45], v[82:83], -v[80:81]
	v_fma_f64 v[94:95], v[46:47], v[102:103], -v[84:85]
	v_add_f64 v[102:103], v[74:75], -v[60:61]
	v_add_f64 v[160:161], v[76:77], v[78:79]
	v_fma_f64 v[84:85], v[38:39], v[90:91], -v[58:59]
	v_fma_f64 v[80:81], v[62:63], v[90:91], v[148:149]
	v_fma_f64 v[88:89], v[40:41], v[86:87], -v[150:151]
	global_load_b128 v[46:49], v139, s[4:5] offset:48
	v_fma_f64 v[40:41], v[52:53], v[66:67], v[68:69]
	v_fma_f64 v[38:39], v[28:29], v[70:71], v[72:73]
	v_mul_f64 v[146:147], v[140:141], s[12:13]
	v_mul_f64 v[152:153], v[140:141], s[24:25]
	;; [unrolled: 1-line block ×10, first 2 shown]
	v_add_f64 v[148:149], v[100:101], v[98:99]
	v_mul_f64 v[150:151], v[142:143], s[2:3]
	v_fma_f64 v[82:83], v[64:65], v[86:87], v[42:43]
	v_mul_f64 v[64:65], v[142:143], s[20:21]
	v_fma_f64 v[56:57], v[20:21], v[106:107], -v[144:145]
	v_mul_f64 v[20:21], v[142:143], s[28:29]
	v_fma_f64 v[50:51], v[50:51], v[106:107], v[108:109]
	v_mul_f64 v[108:109], v[142:143], s[12:13]
	v_fma_f64 v[42:43], v[22:23], v[66:67], -v[154:155]
	v_mul_f64 v[142:143], v[142:143], s[6:7]
	v_mul_f64 v[168:169], v[102:103], s[6:7]
	;; [unrolled: 1-line block ×5, first 2 shown]
	v_fma_f64 v[58:59], v[104:105], s[14:15], -v[146:147]
	v_fma_f64 v[146:147], v[104:105], s[14:15], v[146:147]
	v_fma_f64 v[86:87], v[104:105], s[22:23], -v[152:153]
	v_fma_f64 v[106:107], v[104:105], s[22:23], v[152:153]
	v_fma_f64 v[22:23], v[104:105], s[26:27], -v[156:157]
	v_fma_f64 v[144:145], v[104:105], s[26:27], v[156:157]
	v_fma_f64 v[154:155], v[104:105], s[30:31], -v[44:45]
	v_add_f64 v[152:153], v[92:93], v[94:95]
	v_fma_f64 v[156:157], v[104:105], s[30:31], v[44:45]
	v_fma_f64 v[66:67], v[104:105], s[34:35], -v[140:141]
	v_fma_f64 v[44:45], v[10:11], v[70:71], -v[158:159]
	v_mul_f64 v[10:11], v[102:103], s[12:13]
	v_fma_f64 v[70:71], v[104:105], s[34:35], v[140:141]
	v_fma_f64 v[72:73], v[160:161], s[22:23], -v[162:163]
	v_fma_f64 v[102:103], v[160:161], s[22:23], v[162:163]
	v_fma_f64 v[104:105], v[160:161], s[30:31], -v[164:165]
	;; [unrolled: 2-line block ×10, first 2 shown]
	v_fma_f64 v[148:149], v[148:149], s[30:31], v[142:143]
	global_load_b128 v[62:65], v139, s[4:5] offset:80
	v_add_f64 v[58:59], v[124:125], v[58:59]
	v_add_f64 v[146:147], v[124:125], v[146:147]
	;; [unrolled: 1-line block ×7, first 2 shown]
	v_fma_f64 v[186:187], v[152:153], s[26:27], -v[52:53]
	v_add_f64 v[154:155], v[124:125], v[156:157]
	v_fma_f64 v[156:157], v[152:153], s[30:31], -v[168:169]
	v_fma_f64 v[168:169], v[152:153], s[30:31], v[168:169]
	v_fma_f64 v[52:53], v[152:153], s[26:27], v[52:53]
	v_fma_f64 v[188:189], v[152:153], s[14:15], -v[10:11]
	v_fma_f64 v[10:11], v[152:153], s[14:15], v[10:11]
	v_fma_f64 v[190:191], v[152:153], s[34:35], -v[28:29]
	;; [unrolled: 2-line block ×3, first 2 shown]
	v_fma_f64 v[68:69], v[152:153], s[22:23], v[68:69]
	global_load_b128 v[20:23], v139, s[4:5] offset:64
	v_add_f64 v[66:67], v[124:125], v[66:67]
	v_add_f64 v[70:71], v[124:125], v[70:71]
	;; [unrolled: 1-line block ×6, first 2 shown]
	global_load_b128 v[102:105], v139, s[4:5] offset:96
	v_add_f64 v[152:153], v[140:141], v[106:107]
	v_add_f64 v[158:159], v[158:159], v[108:109]
	;; [unrolled: 1-line block ×3, first 2 shown]
	global_load_b128 v[106:109], v139, s[4:5] offset:112
	v_add_f64 v[164:165], v[164:165], v[142:143]
	s_clause 0x1
	global_load_b128 v[140:143], v139, s[4:5] offset:128
	global_load_b128 v[144:147], v139, s[4:5] offset:144
	v_add_f64 v[154:155], v[166:167], v[154:155]
	v_add_f64 v[166:167], v[84:85], v[88:89]
	s_waitcnt vmcnt(0)
	s_barrier
	buffer_gl0_inv
	v_add_f64 v[66:67], v[170:171], v[66:67]
	v_add_f64 v[70:71], v[90:91], v[70:71]
	;; [unrolled: 1-line block ×3, first 2 shown]
	v_add_f64 v[90:91], v[80:81], -v[82:83]
	v_add_f64 v[58:59], v[160:161], v[58:59]
	v_add_f64 v[72:73], v[150:151], v[72:73]
	;; [unrolled: 1-line block ×11, first 2 shown]
	v_mul_f64 v[170:171], v[90:91], s[10:11]
	v_mul_f64 v[172:173], v[90:91], s[16:17]
	;; [unrolled: 1-line block ×5, first 2 shown]
	v_add_f64 v[156:157], v[156:157], v[58:59]
	v_add_f64 v[152:153], v[52:53], v[152:153]
	;; [unrolled: 1-line block ×9, first 2 shown]
	v_fma_f64 v[180:181], v[166:167], s[22:23], -v[176:177]
	v_fma_f64 v[176:177], v[166:167], s[22:23], v[176:177]
	v_fma_f64 v[182:183], v[166:167], s[26:27], -v[90:91]
	s_delay_alu instid0(VALU_DEP_4) | instskip(NEXT) | instid1(VALU_DEP_1)
	v_add_f64 v[124:125], v[124:125], v[84:85]
	v_add_f64 v[124:125], v[124:125], v[88:89]
	v_mul_f64 v[160:161], v[30:31], v[48:49]
	v_mul_f64 v[48:49], v[12:13], v[48:49]
	s_delay_alu instid0(VALU_DEP_3) | instskip(NEXT) | instid1(VALU_DEP_3)
	v_add_f64 v[124:125], v[124:125], v[94:95]
	v_fma_f64 v[70:71], v[12:13], v[46:47], -v[160:161]
	v_fma_f64 v[160:161], v[166:167], s[14:15], -v[172:173]
	s_delay_alu instid0(VALU_DEP_3)
	v_add_f64 v[124:125], v[124:125], v[98:99]
	v_mul_f64 v[150:151], v[26:27], v[64:65]
	v_mul_f64 v[12:13], v[8:9], v[64:65]
	v_fma_f64 v[64:65], v[30:31], v[46:47], v[48:49]
	v_fma_f64 v[30:31], v[166:167], s[34:35], -v[170:171]
	v_fma_f64 v[46:47], v[166:167], s[34:35], v[170:171]
	v_fma_f64 v[170:171], v[166:167], s[14:15], v[172:173]
	v_fma_f64 v[172:173], v[166:167], s[30:31], -v[174:175]
	v_fma_f64 v[174:175], v[166:167], s[30:31], v[174:175]
	v_fma_f64 v[166:167], v[166:167], s[26:27], v[90:91]
	v_add_f64 v[124:125], v[124:125], v[78:79]
	v_mul_f64 v[178:179], v[24:25], v[22:23]
	v_mul_f64 v[22:23], v[6:7], v[22:23]
	v_fma_f64 v[68:69], v[8:9], v[62:63], -v[150:151]
	v_fma_f64 v[58:59], v[26:27], v[62:63], v[12:13]
	v_add_f64 v[26:27], v[46:47], v[162:163]
	v_add_f64 v[12:13], v[170:171], v[152:153]
	;; [unrolled: 1-line block ×3, first 2 shown]
	v_mul_f64 v[48:49], v[32:33], v[104:105]
	v_mul_f64 v[90:91], v[14:15], v[104:105]
	v_add_f64 v[104:105], v[186:187], v[86:87]
	v_add_f64 v[186:187], v[192:193], v[66:67]
	v_mul_f64 v[86:87], v[34:35], v[108:109]
	v_mul_f64 v[108:109], v[16:17], v[108:109]
	;; [unrolled: 1-line block ×6, first 2 shown]
	v_fma_f64 v[66:67], v[6:7], v[20:21], -v[178:179]
	v_fma_f64 v[52:53], v[24:25], v[20:21], v[22:23]
	v_add_f64 v[22:23], v[166:167], v[148:149]
	v_add_f64 v[6:7], v[30:31], v[156:157]
	;; [unrolled: 1-line block ×3, first 2 shown]
	v_fma_f64 v[72:73], v[14:15], v[102:103], -v[48:49]
	v_fma_f64 v[62:63], v[32:33], v[102:103], v[90:91]
	v_add_f64 v[8:9], v[160:161], v[104:105]
	v_add_f64 v[14:15], v[172:173], v[158:159]
	v_fma_f64 v[86:87], v[16:17], v[106:107], -v[86:87]
	v_fma_f64 v[48:49], v[34:35], v[106:107], v[108:109]
	v_fma_f64 v[90:91], v[18:19], v[140:141], -v[184:185]
	v_fma_f64 v[36:37], v[36:37], v[140:141], v[142:143]
	;; [unrolled: 2-line block ×3, first 2 shown]
	v_add_f64 v[16:17], v[180:181], v[164:165]
	v_add_f64 v[20:21], v[182:183], v[186:187]
	;; [unrolled: 1-line block ×3, first 2 shown]
	v_and_b32_e32 v28, 0xffff, v119
	v_lshlrev_b32_e32 v29, 3, v133
	v_and_b32_e32 v104, 0xffff, v137
	v_lshlrev_b32_e32 v105, 3, v138
	s_delay_alu instid0(VALU_DEP_4) | instskip(NEXT) | instid1(VALU_DEP_1)
	v_mad_u32_u24 v28, 0x210, v28, 0
	v_add3_u32 v106, v28, v29, v136
	ds_store_2addr_b64 v106, v[8:9], v[14:15] offset0:12 offset1:18
	ds_store_2addr_b64 v106, v[16:17], v[20:21] offset0:24 offset1:30
	;; [unrolled: 1-line block ×4, first 2 shown]
	ds_store_2addr_b64 v106, v[24:25], v[6:7] offset1:6
	ds_store_b64 v106, v[26:27] offset:480
	s_and_saveexec_b32 s1, s0
	s_cbranch_execz .LBB0_16
; %bb.15:
	v_add_f64 v[6:7], v[4:5], v[56:57]
	v_add_f64 v[8:9], v[50:51], -v[46:47]
	v_add_f64 v[10:11], v[40:41], -v[36:37]
	v_add_f64 v[12:13], v[56:57], v[102:103]
	v_add_f64 v[22:23], v[38:39], -v[48:49]
	v_add_f64 v[24:25], v[42:43], v[90:91]
	v_add_f64 v[137:138], v[44:45], v[86:87]
	;; [unrolled: 1-line block ×3, first 2 shown]
	v_mul_f64 v[14:15], v[8:9], s[10:11]
	v_mul_f64 v[16:17], v[8:9], s[6:7]
	;; [unrolled: 1-line block ×15, first 2 shown]
	v_add_f64 v[6:7], v[6:7], v[44:45]
	v_fma_f64 v[34:35], v[12:13], s[34:35], v[14:15]
	v_fma_f64 v[14:15], v[12:13], s[34:35], -v[14:15]
	v_fma_f64 v[107:108], v[12:13], s[30:31], v[16:17]
	v_fma_f64 v[16:17], v[12:13], s[30:31], -v[16:17]
	v_fma_f64 v[122:123], v[12:13], s[26:27], -v[18:19]
	;; [unrolled: 1-line block ×3, first 2 shown]
	v_fma_f64 v[18:19], v[12:13], s[26:27], v[18:19]
	v_fma_f64 v[20:21], v[12:13], s[22:23], v[20:21]
	v_fma_f64 v[128:129], v[12:13], s[14:15], -v[8:9]
	v_fma_f64 v[8:9], v[12:13], s[14:15], v[8:9]
	v_add_f64 v[12:13], v[64:65], -v[62:63]
	v_fma_f64 v[147:148], v[24:25], s[14:15], v[26:27]
	v_fma_f64 v[26:27], v[24:25], s[14:15], -v[26:27]
	v_fma_f64 v[149:150], v[24:25], s[26:27], v[28:29]
	v_fma_f64 v[28:29], v[24:25], s[26:27], -v[28:29]
	;; [unrolled: 2-line block ×5, first 2 shown]
	v_fma_f64 v[165:166], v[137:138], s[30:31], v[139:140]
	v_fma_f64 v[167:168], v[137:138], s[14:15], v[141:142]
	;; [unrolled: 1-line block ×3, first 2 shown]
	v_fma_f64 v[143:144], v[137:138], s[22:23], -v[143:144]
	v_fma_f64 v[171:172], v[137:138], s[34:35], v[145:146]
	v_fma_f64 v[145:146], v[137:138], s[34:35], -v[145:146]
	v_fma_f64 v[139:140], v[137:138], s[30:31], -v[139:140]
	v_fma_f64 v[141:142], v[137:138], s[14:15], -v[141:142]
	v_fma_f64 v[173:174], v[137:138], s[26:27], v[22:23]
	v_fma_f64 v[22:23], v[137:138], s[26:27], -v[22:23]
	v_add_f64 v[6:7], v[6:7], v[70:71]
	v_add_f64 v[24:25], v[4:5], v[34:35]
	;; [unrolled: 1-line block ×11, first 2 shown]
	v_add_f64 v[8:9], v[52:53], -v[58:59]
	v_add_f64 v[128:129], v[70:71], v[72:73]
	v_mul_f64 v[157:158], v[12:13], s[28:29]
	v_mul_f64 v[159:160], v[12:13], s[10:11]
	;; [unrolled: 1-line block ×5, first 2 shown]
	v_add_f64 v[6:7], v[6:7], v[66:67]
	v_add_f64 v[24:25], v[147:148], v[24:25]
	;; [unrolled: 1-line block ×12, first 2 shown]
	v_mul_f64 v[34:35], v[8:9], s[2:3]
	v_mul_f64 v[107:108], v[8:9], s[28:29]
	;; [unrolled: 1-line block ×4, first 2 shown]
	v_fma_f64 v[137:138], v[128:129], s[22:23], v[157:158]
	v_fma_f64 v[149:150], v[128:129], s[34:35], v[159:160]
	v_fma_f64 v[151:152], v[128:129], s[34:35], -v[159:160]
	v_fma_f64 v[155:156], v[128:129], s[14:15], -v[161:162]
	;; [unrolled: 1-line block ×4, first 2 shown]
	v_fma_f64 v[153:154], v[128:129], s[14:15], v[161:162]
	v_fma_f64 v[157:158], v[128:129], s[26:27], v[163:164]
	v_mul_f64 v[8:9], v[8:9], s[10:11]
	v_fma_f64 v[161:162], v[128:129], s[30:31], v[12:13]
	v_fma_f64 v[12:13], v[128:129], s[30:31], -v[12:13]
	v_add_f64 v[6:7], v[6:7], v[68:69]
	v_add_f64 v[24:25], v[165:166], v[24:25]
	;; [unrolled: 1-line block ×11, first 2 shown]
	v_fma_f64 v[22:23], v[32:33], s[26:27], v[34:35]
	v_fma_f64 v[128:129], v[32:33], s[22:23], v[107:108]
	;; [unrolled: 1-line block ×3, first 2 shown]
	v_fma_f64 v[122:123], v[32:33], s[30:31], -v[122:123]
	v_fma_f64 v[141:142], v[32:33], s[14:15], v[124:125]
	v_fma_f64 v[124:125], v[32:33], s[14:15], -v[124:125]
	v_fma_f64 v[34:35], v[32:33], s[26:27], -v[34:35]
	;; [unrolled: 1-line block ×3, first 2 shown]
	v_fma_f64 v[143:144], v[32:33], s[34:35], v[8:9]
	v_fma_f64 v[8:9], v[32:33], s[34:35], -v[8:9]
	v_add_f64 v[6:7], v[6:7], v[72:73]
	v_add_f64 v[24:25], v[137:138], v[24:25]
	;; [unrolled: 1-line block ×22, first 2 shown]
	v_mad_u32_u24 v10, 0x210, v104, 0
	s_delay_alu instid0(VALU_DEP_1) | instskip(SKIP_1) | instid1(VALU_DEP_1)
	v_add3_u32 v10, v10, v105, v136
	v_add_f64 v[6:7], v[6:7], v[90:91]
	v_add_f64 v[6:7], v[6:7], v[102:103]
	ds_store_2addr_b64 v10, v[26:27], v[24:25] offset0:12 offset1:18
	ds_store_2addr_b64 v10, v[16:17], v[14:15] offset0:24 offset1:30
	;; [unrolled: 1-line block ×4, first 2 shown]
	ds_store_2addr_b64 v10, v[6:7], v[8:9] offset1:6
	ds_store_b64 v10, v[4:5] offset:480
.LBB0_16:
	s_or_b32 exec_lo, exec_lo, s1
	v_add_f64 v[4:5], v[0:1], v[126:127]
	v_add_f64 v[6:7], v[114:115], -v[130:131]
	v_add_f64 v[8:9], v[76:77], -v[78:79]
	v_add_f64 v[10:11], v[126:127], v[110:111]
	v_add_f64 v[20:21], v[100:101], -v[98:99]
	v_add_f64 v[22:23], v[116:117], v[112:113]
	v_add_f64 v[92:93], v[92:93], -v[94:95]
	s_waitcnt lgkmcnt(0)
	s_barrier
	buffer_gl0_inv
	v_add_f64 v[4:5], v[4:5], v[116:117]
	v_mul_f64 v[12:13], v[6:7], s[12:13]
	v_mul_f64 v[14:15], v[6:7], s[24:25]
	;; [unrolled: 1-line block ×14, first 2 shown]
	v_add_f64 v[4:5], v[4:5], v[96:97]
	v_fma_f64 v[32:33], v[10:11], s[14:15], v[12:13]
	v_fma_f64 v[34:35], v[10:11], s[22:23], v[14:15]
	v_fma_f64 v[14:15], v[10:11], s[22:23], -v[14:15]
	v_fma_f64 v[76:77], v[10:11], s[26:27], v[16:17]
	v_fma_f64 v[78:79], v[10:11], s[30:31], v[18:19]
	v_fma_f64 v[18:19], v[10:11], s[30:31], -v[18:19]
	v_fma_f64 v[98:99], v[10:11], s[34:35], v[6:7]
	v_fma_f64 v[6:7], v[10:11], s[34:35], -v[6:7]
	v_fma_f64 v[16:17], v[10:11], s[26:27], -v[16:17]
	;; [unrolled: 1-line block ×3, first 2 shown]
	v_add_f64 v[12:13], v[96:97], v[54:55]
	v_mul_f64 v[96:97], v[20:21], s[20:21]
	v_mul_f64 v[20:21], v[20:21], s[6:7]
	v_fma_f64 v[114:115], v[22:23], s[22:23], v[24:25]
	v_fma_f64 v[24:25], v[22:23], s[22:23], -v[24:25]
	v_fma_f64 v[116:117], v[22:23], s[30:31], v[26:27]
	v_fma_f64 v[26:27], v[22:23], s[30:31], -v[26:27]
	;; [unrolled: 2-line block ×5, first 2 shown]
	v_add_f64 v[4:5], v[4:5], v[74:75]
	v_add_f64 v[22:23], v[0:1], v[32:33]
	;; [unrolled: 1-line block ×12, first 2 shown]
	v_add_f64 v[74:75], v[84:85], -v[88:89]
	v_mul_f64 v[84:85], v[92:93], s[6:7]
	v_mul_f64 v[88:89], v[92:93], s[18:19]
	;; [unrolled: 1-line block ×3, first 2 shown]
	v_fma_f64 v[130:131], v[12:13], s[26:27], v[94:95]
	v_fma_f64 v[94:95], v[12:13], s[26:27], -v[94:95]
	v_fma_f64 v[137:138], v[12:13], s[34:35], v[96:97]
	v_fma_f64 v[96:97], v[12:13], s[34:35], -v[96:97]
	v_fma_f64 v[139:140], v[12:13], s[22:23], v[100:101]
	v_fma_f64 v[100:101], v[12:13], s[22:23], -v[100:101]
	v_fma_f64 v[141:142], v[12:13], s[14:15], v[107:108]
	v_fma_f64 v[107:108], v[12:13], s[14:15], -v[107:108]
	v_fma_f64 v[143:144], v[12:13], s[30:31], v[20:21]
	v_fma_f64 v[12:13], v[12:13], s[30:31], -v[20:21]
	v_mul_f64 v[92:93], v[92:93], s[28:29]
	v_add_f64 v[4:5], v[4:5], v[80:81]
	v_add_f64 v[20:21], v[114:115], v[22:23]
	;; [unrolled: 1-line block ×12, first 2 shown]
	v_mul_f64 v[28:29], v[74:75], s[16:17]
	v_mul_f64 v[34:35], v[74:75], s[6:7]
	v_fma_f64 v[76:77], v[10:11], s[30:31], v[84:85]
	v_fma_f64 v[78:79], v[10:11], s[30:31], -v[84:85]
	v_fma_f64 v[80:81], v[10:11], s[26:27], v[88:89]
	v_fma_f64 v[84:85], v[10:11], s[14:15], v[98:99]
	v_mul_f64 v[24:25], v[74:75], s[10:11]
	v_fma_f64 v[114:115], v[10:11], s[34:35], -v[128:129]
	v_fma_f64 v[116:117], v[10:11], s[22:23], v[92:93]
	v_add_f64 v[4:5], v[4:5], v[82:83]
	v_fma_f64 v[82:83], v[10:11], s[26:27], -v[88:89]
	v_add_f64 v[22:23], v[137:138], v[22:23]
	v_fma_f64 v[88:89], v[10:11], s[14:15], -v[98:99]
	v_add_f64 v[26:27], v[139:140], v[26:27]
	v_fma_f64 v[98:99], v[10:11], s[34:35], v[128:129]
	v_add_f64 v[32:33], v[141:142], v[32:33]
	v_add_f64 v[30:31], v[143:144], v[30:31]
	v_fma_f64 v[10:11], v[10:11], s[22:23], -v[92:93]
	v_add_f64 v[18:19], v[107:108], v[18:19]
	v_add_f64 v[6:7], v[12:13], v[6:7]
	;; [unrolled: 1-line block ×6, first 2 shown]
	v_fma_f64 v[92:93], v[16:17], s[30:31], v[34:35]
	v_fma_f64 v[34:35], v[16:17], s[30:31], -v[34:35]
	v_fma_f64 v[12:13], v[16:17], s[34:35], v[24:25]
	v_fma_f64 v[24:25], v[16:17], s[34:35], -v[24:25]
	v_add_f64 v[4:5], v[4:5], v[60:61]
	v_mul_f64 v[60:61], v[74:75], s[28:29]
	v_mul_f64 v[74:75], v[74:75], s[2:3]
	v_add_f64 v[22:23], v[80:81], v[22:23]
	v_add_f64 v[26:27], v[84:85], v[26:27]
	;; [unrolled: 1-line block ×10, first 2 shown]
	v_add_nc_u32_e32 v76, 0x1800, v135
	v_add_nc_u32_e32 v78, 0x800, v135
	;; [unrolled: 1-line block ×3, first 2 shown]
	v_add_f64 v[4:5], v[4:5], v[54:55]
	v_fma_f64 v[54:55], v[16:17], s[14:15], v[28:29]
	v_fma_f64 v[94:95], v[16:17], s[22:23], v[60:61]
	;; [unrolled: 1-line block ×3, first 2 shown]
	v_fma_f64 v[28:29], v[16:17], s[14:15], -v[28:29]
	v_fma_f64 v[60:61], v[16:17], s[22:23], -v[60:61]
	;; [unrolled: 1-line block ×3, first 2 shown]
	v_add_f64 v[88:89], v[92:93], v[26:27]
	v_add_nc_u32_e32 v75, 0x1400, v135
	v_add_nc_u32_e32 v74, 0xc00, v135
	v_add_f64 v[100:101], v[34:35], v[8:9]
	v_add_f64 v[79:80], v[12:13], v[20:21]
	;; [unrolled: 1-line block ×9, first 2 shown]
	v_add_nc_u32_e32 v61, 0x1000, v135
	v_add_nc_u32_e32 v60, 0x400, v135
	v_add_f64 v[107:108], v[4:5], v[110:111]
	v_add_f64 v[109:110], v[24:25], v[0:1]
	ds_load_2addr_b64 v[4:7], v135 offset0:66 offset1:132
	ds_load_b64 v[0:1], v134
	ds_load_b64 v[54:55], v135 offset:8976
	ds_load_2addr_b64 v[32:35], v61 offset0:82 offset1:148
	ds_load_2addr_b64 v[20:23], v75 offset0:86 offset1:152
	;; [unrolled: 1-line block ×7, first 2 shown]
	s_waitcnt lgkmcnt(0)
	s_barrier
	buffer_gl0_inv
	ds_store_2addr_b64 v106, v[81:82], v[88:89] offset0:12 offset1:18
	ds_store_2addr_b64 v106, v[92:93], v[96:97] offset0:24 offset1:30
	;; [unrolled: 1-line block ×4, first 2 shown]
	ds_store_2addr_b64 v106, v[107:108], v[79:80] offset1:6
	ds_store_b64 v106, v[109:110] offset:480
	s_and_saveexec_b32 s28, s0
	s_cbranch_execz .LBB0_18
; %bb.17:
	v_add_f64 v[79:80], v[2:3], v[50:51]
	v_add_f64 v[56:57], v[56:57], -v[102:103]
	s_mov_b32 s22, 0xf8bb580b
	s_mov_b32 s12, 0x43842ef
	;; [unrolled: 1-line block ×10, first 2 shown]
	v_add_f64 v[50:51], v[50:51], v[46:47]
	v_add_f64 v[42:43], v[42:43], -v[90:91]
	s_mov_b32 s6, 0x8764f0ba
	s_mov_b32 s0, 0xd9c712b6
	;; [unrolled: 1-line block ×16, first 2 shown]
	v_add_f64 v[44:45], v[44:45], -v[86:87]
	v_add_f64 v[70:71], v[70:71], -v[72:73]
	v_add_f64 v[79:80], v[79:80], v[40:41]
	v_mul_f64 v[81:82], v[56:57], s[22:23]
	v_mul_f64 v[83:84], v[56:57], s[10:11]
	;; [unrolled: 1-line block ×5, first 2 shown]
	v_add_f64 v[40:41], v[40:41], v[36:37]
	v_mul_f64 v[85:86], v[42:43], s[10:11]
	v_mul_f64 v[92:93], v[42:43], s[14:15]
	;; [unrolled: 1-line block ×5, first 2 shown]
	s_mov_b32 s11, 0x3fed1bb4
	v_mul_f64 v[72:73], v[44:45], s[12:13]
	v_mul_f64 v[110:111], v[44:45], s[22:23]
	;; [unrolled: 1-line block ×4, first 2 shown]
	v_add_f64 v[79:80], v[79:80], v[38:39]
	v_fma_f64 v[98:99], v[50:51], s[6:7], v[81:82]
	v_fma_f64 v[100:101], v[50:51], s[0:1], v[83:84]
	v_fma_f64 v[83:84], v[50:51], s[0:1], -v[83:84]
	v_fma_f64 v[102:103], v[50:51], s[2:3], v[88:89]
	v_fma_f64 v[106:107], v[50:51], s[16:17], v[90:91]
	v_fma_f64 v[90:91], v[50:51], s[16:17], -v[90:91]
	v_fma_f64 v[108:109], v[50:51], s[20:21], v[56:57]
	v_fma_f64 v[56:57], v[50:51], s[20:21], -v[56:57]
	v_fma_f64 v[87:88], v[50:51], s[2:3], -v[88:89]
	;; [unrolled: 1-line block ×3, first 2 shown]
	v_add_f64 v[38:39], v[38:39], v[48:49]
	v_mul_f64 v[81:82], v[44:45], s[30:31]
	v_mul_f64 v[44:45], v[44:45], s[10:11]
	v_fma_f64 v[114:115], v[40:41], s[0:1], v[85:86]
	v_fma_f64 v[85:86], v[40:41], s[0:1], -v[85:86]
	v_fma_f64 v[116:117], v[40:41], s[16:17], v[92:93]
	v_fma_f64 v[92:93], v[40:41], s[16:17], -v[92:93]
	;; [unrolled: 2-line block ×5, first 2 shown]
	v_add_f64 v[79:80], v[79:80], v[64:65]
	v_add_f64 v[42:43], v[2:3], v[98:99]
	;; [unrolled: 1-line block ×12, first 2 shown]
	v_add_f64 v[64:65], v[66:67], -v[68:69]
	v_mul_f64 v[66:67], v[70:71], s[14:15]
	v_mul_f64 v[68:69], v[70:71], s[26:27]
	;; [unrolled: 1-line block ×4, first 2 shown]
	v_fma_f64 v[130:131], v[38:39], s[2:3], v[72:73]
	v_fma_f64 v[72:73], v[38:39], s[2:3], -v[72:73]
	v_fma_f64 v[137:138], v[38:39], s[20:21], v[81:82]
	v_fma_f64 v[81:82], v[38:39], s[20:21], -v[81:82]
	;; [unrolled: 2-line block ×5, first 2 shown]
	v_add_f64 v[79:80], v[79:80], v[52:53]
	v_add_f64 v[42:43], v[114:115], v[42:43]
	;; [unrolled: 1-line block ×12, first 2 shown]
	v_mul_f64 v[85:86], v[64:65], s[14:15]
	v_mul_f64 v[87:88], v[64:65], s[12:13]
	v_fma_f64 v[93:94], v[50:51], s[16:17], v[66:67]
	v_fma_f64 v[66:67], v[50:51], s[16:17], -v[66:67]
	v_fma_f64 v[100:101], v[50:51], s[2:3], v[68:69]
	v_fma_f64 v[68:69], v[50:51], s[2:3], -v[68:69]
	;; [unrolled: 2-line block ×5, first 2 shown]
	v_add_f64 v[79:80], v[79:80], v[58:59]
	v_mul_f64 v[58:59], v[64:65], s[18:19]
	v_add_f64 v[44:45], v[137:138], v[44:45]
	v_add_f64 v[70:71], v[81:82], v[83:84]
	;; [unrolled: 1-line block ×10, first 2 shown]
	v_fma_f64 v[95:96], v[52:53], s[2:3], v[87:88]
	v_fma_f64 v[87:88], v[52:53], s[2:3], -v[87:88]
	v_add_f64 v[62:63], v[79:80], v[62:63]
	v_mul_f64 v[79:80], v[64:65], s[24:25]
	v_mul_f64 v[64:65], v[64:65], s[10:11]
	v_fma_f64 v[56:57], v[52:53], s[20:21], v[58:59]
	v_fma_f64 v[58:59], v[52:53], s[20:21], -v[58:59]
	v_add_f64 v[44:45], v[100:101], v[44:45]
	v_add_f64 v[42:43], v[93:94], v[42:43]
	;; [unrolled: 1-line block ×6, first 2 shown]
	v_fma_f64 v[62:63], v[52:53], s[6:7], v[79:80]
	v_fma_f64 v[72:73], v[52:53], s[6:7], -v[79:80]
	v_fma_f64 v[79:80], v[52:53], s[16:17], v[85:86]
	v_fma_f64 v[85:86], v[52:53], s[16:17], -v[85:86]
	v_fma_f64 v[97:98], v[52:53], s[0:1], v[64:65]
	v_fma_f64 v[52:53], v[52:53], s[0:1], -v[64:65]
	v_add_f64 v[64:65], v[68:69], v[70:71]
	v_add_f64 v[68:69], v[102:103], v[81:82]
	v_add_f64 v[70:71], v[108:109], v[83:84]
	v_add_f64 v[83:84], v[116:117], v[91:92]
	v_add_f64 v[81:82], v[114:115], v[89:90]
	v_add_f64 v[42:43], v[56:57], v[42:43]
	v_add_f64 v[40:41], v[87:88], v[40:41]
	v_add_f64 v[2:3], v[58:59], v[2:3]
	v_add_f64 v[36:37], v[48:49], v[36:37]
	v_add_f64 v[44:45], v[62:63], v[44:45]
	v_add_f64 v[38:39], v[85:86], v[38:39]
	v_add_f64 v[48:49], v[72:73], v[64:65]
	v_add_f64 v[50:51], v[79:80], v[68:69]
	v_add_f64 v[56:57], v[97:98], v[70:71]
	v_add_f64 v[62:63], v[95:96], v[83:84]
	v_add_f64 v[52:53], v[52:53], v[81:82]
	v_add_f64 v[36:37], v[36:37], v[46:47]
	v_mad_u32_u24 v46, 0x210, v104, 0
	s_delay_alu instid0(VALU_DEP_1)
	v_add3_u32 v46, v46, v105, v136
	ds_store_2addr_b64 v46, v[44:45], v[50:51] offset0:12 offset1:18
	ds_store_2addr_b64 v46, v[56:57], v[62:63] offset0:24 offset1:30
	;; [unrolled: 1-line block ×4, first 2 shown]
	ds_store_2addr_b64 v46, v[36:37], v[42:43] offset1:6
	ds_store_b64 v46, v[2:3] offset:480
.LBB0_18:
	s_or_b32 exec_lo, exec_lo, s28
	v_add_nc_u32_e32 v53, 0x84, v118
	v_dual_mov_b32 v119, 0 :: v_dual_add_nc_u32 v52, 0xc6, v118
	v_add_nc_u32_e32 v51, 0x108, v118
	v_add_nc_u32_e32 v50, 0x14a, v118
	s_delay_alu instid0(VALU_DEP_4) | instskip(NEXT) | instid1(VALU_DEP_4)
	v_and_b32_e32 v2, 0xff, v53
	v_and_b32_e32 v3, 0xffff, v52
	v_lshlrev_b64 v[40:41], 4, v[118:119]
	v_add_nc_u32_e32 v46, 0x18c, v118
	v_add_nc_u32_e32 v47, 0x1ce, v118
	v_mul_lo_u16 v2, 0xf9, v2
	v_mul_u32_u24_e32 v3, 0xf83f, v3
	v_add_nc_u32_e32 v48, 0x210, v118
	v_and_b32_e32 v36, 0xffff, v51
	v_and_b32_e32 v37, 0xffff, v50
	v_lshrrev_b16 v2, 14, v2
	v_lshrrev_b32_e32 v3, 22, v3
	v_and_b32_e32 v38, 0xffff, v46
	v_and_b32_e32 v39, 0xffff, v47
	v_and_b32_e32 v49, 0xffff, v48
	v_mul_lo_u16 v2, 0x42, v2
	v_mul_lo_u16 v3, 0x42, v3
	v_mul_u32_u24_e32 v117, 0xf83f, v36
	v_mul_u32_u24_e32 v124, 0xf83f, v37
	;; [unrolled: 1-line block ×3, first 2 shown]
	v_sub_nc_u16 v2, v53, v2
	v_sub_nc_u16 v3, v52, v3
	s_waitcnt lgkmcnt(0)
	s_barrier
	buffer_gl0_inv
	v_and_b32_e32 v125, 0xff, v2
	v_add_co_u32 v2, s0, s4, v40
	v_and_b32_e32 v126, 0xffff, v3
	v_add_co_ci_u32_e64 v3, s0, s5, v41, s0
	s_delay_alu instid0(VALU_DEP_4)
	v_lshlrev_b32_e32 v42, 4, v125
	v_mul_u32_u24_e32 v57, 0xf83f, v39
	v_lshrrev_b32_e32 v56, 22, v56
	s_clause 0x1
	global_load_b128 v[36:39], v[2:3], off offset:960
	global_load_b128 v[42:45], v42, s[4:5] offset:960
	v_mul_u32_u24_e32 v2, 0xf83f, v49
	v_lshrrev_b32_e32 v3, 22, v117
	v_lshrrev_b32_e32 v49, 22, v124
	;; [unrolled: 1-line block ×3, first 2 shown]
	v_mul_lo_u16 v56, 0x42, v56
	v_lshrrev_b32_e32 v2, 22, v2
	v_mul_lo_u16 v3, 0x42, v3
	v_mul_lo_u16 v49, 0x42, v49
	;; [unrolled: 1-line block ×3, first 2 shown]
	v_sub_nc_u16 v46, v46, v56
	v_mul_lo_u16 v2, 0x42, v2
	v_sub_nc_u16 v3, v51, v3
	v_sub_nc_u16 v49, v50, v49
	;; [unrolled: 1-line block ×3, first 2 shown]
	v_and_b32_e32 v129, 0xffff, v46
	v_sub_nc_u16 v2, v48, v2
	v_and_b32_e32 v127, 0xffff, v3
	v_and_b32_e32 v128, 0xffff, v49
	;; [unrolled: 1-line block ×3, first 2 shown]
	v_lshlrev_b32_e32 v58, 4, v126
	v_and_b32_e32 v131, 0xffff, v2
	v_lshlrev_b32_e32 v2, 4, v127
	v_lshlrev_b32_e32 v3, 4, v128
	;; [unrolled: 1-line block ×5, first 2 shown]
	s_clause 0x5
	global_load_b128 v[46:49], v58, s[4:5] offset:960
	global_load_b128 v[56:59], v2, s[4:5] offset:960
	;; [unrolled: 1-line block ×6, first 2 shown]
	ds_load_2addr_b64 v[83:86], v61 offset0:82 offset1:148
	ds_load_2addr_b64 v[87:90], v75 offset0:86 offset1:152
	;; [unrolled: 1-line block ×4, first 2 shown]
	ds_load_b64 v[2:3], v135 offset:8976
	v_lshlrev_b32_e32 v118, 1, v118
	s_mov_b32 s3, 0xbfebb67a
	s_waitcnt vmcnt(7) lgkmcnt(4)
	v_mul_f64 v[99:100], v[83:84], v[38:39]
	v_mul_f64 v[101:102], v[85:86], v[38:39]
	;; [unrolled: 1-line block ×4, first 2 shown]
	s_waitcnt vmcnt(6) lgkmcnt(3)
	v_mul_f64 v[103:104], v[87:88], v[44:45]
	v_mul_f64 v[44:45], v[20:21], v[44:45]
	s_waitcnt vmcnt(5)
	v_mul_f64 v[105:106], v[89:90], v[48:49]
	v_mul_f64 v[48:49], v[22:23], v[48:49]
	s_waitcnt vmcnt(4) lgkmcnt(2)
	v_mul_f64 v[107:108], v[91:92], v[58:59]
	v_mul_f64 v[58:59], v[24:25], v[58:59]
	s_waitcnt vmcnt(3)
	v_mul_f64 v[109:110], v[93:94], v[64:65]
	v_mul_f64 v[64:65], v[26:27], v[64:65]
	;; [unrolled: 6-line block ×3, first 2 shown]
	s_waitcnt vmcnt(0) lgkmcnt(0)
	v_mul_f64 v[115:116], v[2:3], v[81:82]
	v_mul_f64 v[81:82], v[54:55], v[81:82]
	v_fma_f64 v[32:33], v[32:33], v[36:37], -v[99:100]
	v_fma_f64 v[34:35], v[34:35], v[36:37], -v[101:102]
	v_fma_f64 v[83:84], v[83:84], v[36:37], v[122:123]
	v_fma_f64 v[36:37], v[85:86], v[36:37], v[38:39]
	v_fma_f64 v[99:100], v[20:21], v[42:43], -v[103:104]
	v_fma_f64 v[38:39], v[87:88], v[42:43], v[44:45]
	v_lshrrev_b32_e32 v87, 23, v117
	v_lshrrev_b32_e32 v88, 23, v124
	v_lshlrev_b64 v[42:43], 4, v[118:119]
	v_lshlrev_b32_e32 v118, 1, v132
	s_delay_alu instid0(VALU_DEP_4) | instskip(NEXT) | instid1(VALU_DEP_4)
	v_mul_lo_u16 v87, 0x84, v87
	v_mul_lo_u16 v88, 0x84, v88
	s_delay_alu instid0(VALU_DEP_4) | instskip(NEXT) | instid1(VALU_DEP_3)
	v_add_co_u32 v42, s0, s4, v42
	v_sub_nc_u16 v87, v51, v87
	s_delay_alu instid0(VALU_DEP_3) | instskip(SKIP_1) | instid1(VALU_DEP_3)
	v_sub_nc_u16 v88, v50, v88
	v_add_co_ci_u32_e64 v43, s0, s5, v43, s0
	v_and_b32_e32 v149, 0xffff, v87
	s_delay_alu instid0(VALU_DEP_3)
	v_and_b32_e32 v150, 0xffff, v88
	v_fma_f64 v[101:102], v[22:23], v[46:47], -v[105:106]
	v_fma_f64 v[44:45], v[89:90], v[46:47], v[48:49]
	v_fma_f64 v[103:104], v[24:25], v[56:57], -v[107:108]
	v_fma_f64 v[48:49], v[91:92], v[56:57], v[58:59]
	;; [unrolled: 2-line block ×6, first 2 shown]
	ds_load_b64 v[111:112], v134
	ds_load_2addr_b64 v[20:23], v135 offset0:66 offset1:132
	ds_load_2addr_b64 v[24:27], v60 offset0:70 offset1:136
	;; [unrolled: 1-line block ×3, first 2 shown]
	v_lshlrev_b32_e32 v89, 3, v125
	v_lshlrev_b32_e32 v90, 3, v126
	v_add_f64 v[64:65], v[0:1], -v[32:33]
	v_add_f64 v[66:67], v[4:5], -v[34:35]
	ds_load_2addr_b64 v[32:35], v74 offset0:78 offset1:144
	v_lshlrev_b32_e32 v91, 3, v127
	v_add_f64 v[68:69], v[6:7], -v[99:100]
	v_add3_u32 v89, 0, v89, v136
	v_add3_u32 v90, 0, v90, v136
	v_lshlrev_b32_e32 v92, 3, v128
	v_add3_u32 v91, 0, v91, v136
	v_lshlrev_b32_e32 v93, 3, v131
	v_lshlrev_b64 v[46:47], 4, v[118:119]
	s_waitcnt lgkmcnt(0)
	s_barrier
	buffer_gl0_inv
	v_add_f64 v[83:84], v[111:112], -v[83:84]
	v_add_f64 v[36:37], v[20:21], -v[36:37]
	;; [unrolled: 1-line block ×3, first 2 shown]
	v_add_co_u32 v46, s0, s4, v46
	s_delay_alu instid0(VALU_DEP_1)
	v_add_co_ci_u32_e64 v47, s0, s5, v47, s0
	s_mov_b32 s0, 0xe8584caa
	s_mov_b32 s1, 0x3febb67a
	v_add_f64 v[70:71], v[8:9], -v[101:102]
	v_add_f64 v[44:45], v[24:25], -v[44:45]
	;; [unrolled: 1-line block ×12, first 2 shown]
	v_add_nc_u32_e32 v105, 0x800, v89
	v_add_nc_u32_e32 v106, 0x800, v90
	v_add3_u32 v103, 0, v92, v136
	v_fma_f64 v[0:1], v[0:1], 2.0, -v[64:65]
	v_fma_f64 v[2:3], v[4:5], 2.0, -v[66:67]
	v_add_nc_u32_e32 v107, 0x1000, v91
	v_add3_u32 v104, 0, v93, v136
	v_fma_f64 v[4:5], v[6:7], 2.0, -v[68:69]
	v_add_nc_u32_e32 v103, 0x1000, v103
	s_mov_b32 s2, s0
	s_delay_alu instid0(VALU_DEP_3)
	v_add_nc_u32_e32 v104, 0x2000, v104
	v_fma_f64 v[89:90], v[111:112], 2.0, -v[83:84]
	v_fma_f64 v[91:92], v[20:21], 2.0, -v[36:37]
	;; [unrolled: 1-line block ×15, first 2 shown]
	v_lshlrev_b32_e32 v18, 3, v129
	v_lshlrev_b32_e32 v19, 3, v130
	s_delay_alu instid0(VALU_DEP_2) | instskip(NEXT) | instid1(VALU_DEP_2)
	v_add3_u32 v18, 0, v18, v136
	v_add3_u32 v19, 0, v19, v136
	s_delay_alu instid0(VALU_DEP_2) | instskip(NEXT) | instid1(VALU_DEP_2)
	v_add_nc_u32_e32 v108, 0x1800, v18
	v_add_nc_u32_e32 v109, 0x1800, v19
	ds_store_2addr_b64 v135, v[0:1], v[64:65] offset1:66
	ds_store_2addr_b64 v135, v[2:3], v[66:67] offset0:132 offset1:198
	ds_store_2addr_b64 v105, v[4:5], v[68:69] offset0:8 offset1:74
	;; [unrolled: 1-line block ×8, first 2 shown]
	s_waitcnt lgkmcnt(0)
	s_barrier
	buffer_gl0_inv
	ds_load_2addr_b64 v[0:3], v78 offset0:74 offset1:140
	ds_load_2addr_b64 v[4:7], v75 offset0:86 offset1:152
	;; [unrolled: 1-line block ×8, first 2 shown]
	ds_load_b64 v[111:112], v134
	ds_load_b64 v[113:114], v135 offset:8976
	s_waitcnt lgkmcnt(0)
	s_barrier
	buffer_gl0_inv
	ds_store_2addr_b64 v135, v[89:90], v[83:84] offset1:66
	ds_store_2addr_b64 v135, v[91:92], v[36:37] offset0:132 offset1:198
	ds_store_2addr_b64 v105, v[93:94], v[38:39] offset0:8 offset1:74
	;; [unrolled: 1-line block ×8, first 2 shown]
	s_waitcnt lgkmcnt(0)
	s_barrier
	buffer_gl0_inv
	s_clause 0x3
	global_load_b128 v[32:35], v[42:43], off offset:2032
	global_load_b128 v[36:39], v[42:43], off offset:2016
	;; [unrolled: 1-line block ×4, first 2 shown]
	v_lshlrev_b32_e32 v44, 5, v149
	v_lshlrev_b32_e32 v45, 5, v150
	s_clause 0x3
	global_load_b128 v[66:69], v44, s[4:5] offset:2016
	global_load_b128 v[70:73], v44, s[4:5] offset:2032
	;; [unrolled: 1-line block ×4, first 2 shown]
	ds_load_2addr_b64 v[87:90], v78 offset0:74 offset1:140
	ds_load_2addr_b64 v[91:94], v75 offset0:86 offset1:152
	;; [unrolled: 1-line block ×6, first 2 shown]
	ds_load_b64 v[44:45], v135 offset:8976
	s_waitcnt vmcnt(7) lgkmcnt(5)
	v_mul_f64 v[58:59], v[93:94], v[34:35]
	s_waitcnt vmcnt(6)
	v_mul_f64 v[48:49], v[89:90], v[38:39]
	s_waitcnt vmcnt(5) lgkmcnt(3)
	v_mul_f64 v[117:118], v[99:100], v[56:57]
	s_waitcnt vmcnt(4)
	v_mul_f64 v[115:116], v[95:96], v[64:65]
	v_mul_f64 v[122:123], v[97:98], v[38:39]
	;; [unrolled: 1-line block ×3, first 2 shown]
	s_waitcnt lgkmcnt(2)
	v_mul_f64 v[126:127], v[103:104], v[64:65]
	s_waitcnt lgkmcnt(1)
	v_mul_f64 v[128:129], v[107:108], v[56:57]
	s_waitcnt vmcnt(3)
	v_mul_f64 v[130:131], v[105:106], v[68:69]
	s_waitcnt vmcnt(2)
	;; [unrolled: 2-line block ×3, first 2 shown]
	v_mul_f64 v[137:138], v[91:92], v[81:82]
	s_waitcnt vmcnt(0) lgkmcnt(0)
	v_mul_f64 v[139:140], v[44:45], v[85:86]
	v_mul_f64 v[141:142], v[2:3], v[38:39]
	;; [unrolled: 1-line block ×13, first 2 shown]
	v_fma_f64 v[6:7], v[6:7], v[32:33], -v[58:59]
	v_fma_f64 v[48:49], v[2:3], v[36:37], -v[48:49]
	;; [unrolled: 1-line block ×12, first 2 shown]
	v_fma_f64 v[89:90], v[89:90], v[36:37], v[141:142]
	v_fma_f64 v[93:94], v[93:94], v[32:33], v[143:144]
	;; [unrolled: 1-line block ×12, first 2 shown]
	ds_load_b64 v[81:82], v134
	ds_load_2addr_b64 v[2:5], v135 offset0:66 offset1:132
	ds_load_2addr_b64 v[12:15], v60 offset0:70 offset1:136
	v_lshlrev_b32_e32 v137, 3, v150
	s_waitcnt lgkmcnt(0)
	s_barrier
	buffer_gl0_inv
	v_add_f64 v[64:65], v[48:49], v[6:7]
	v_add_f64 v[83:84], v[111:112], v[48:49]
	;; [unrolled: 1-line block ×13, first 2 shown]
	v_add_f64 v[85:86], v[89:90], -v[93:94]
	v_add_f64 v[103:104], v[95:96], v[99:100]
	v_add_f64 v[101:102], v[95:96], -v[99:100]
	v_add_f64 v[109:110], v[36:37], v[32:33]
	;; [unrolled: 2-line block ×4, first 2 shown]
	v_add_f64 v[36:37], v[4:5], v[36:37]
	v_add_f64 v[132:133], v[62:63], v[44:45]
	v_add_f64 v[58:59], v[58:59], -v[16:17]
	v_add_f64 v[24:25], v[24:25], -v[28:29]
	;; [unrolled: 1-line block ×3, first 2 shown]
	v_fma_f64 v[64:65], v[64:65], -0.5, v[111:112]
	v_add_f64 v[111:112], v[34:35], -v[38:39]
	v_fma_f64 v[8:9], v[66:67], -0.5, v[8:9]
	v_add_f64 v[66:67], v[54:55], -v[56:57]
	;; [unrolled: 2-line block ×3, first 2 shown]
	v_fma_f64 v[20:21], v[70:71], -0.5, v[20:21]
	v_lshlrev_b32_e32 v70, 3, v149
	v_fma_f64 v[22:23], v[72:73], -0.5, v[22:23]
	v_add_f64 v[54:55], v[14:15], v[54:55]
	v_fma_f64 v[0:1], v[79:80], -0.5, v[0:1]
	v_add_f64 v[72:73], v[2:3], v[95:96]
	v_add3_u32 v138, 0, v70, v136
	v_add_f64 v[70:71], v[81:82], v[89:90]
	v_fma_f64 v[81:82], v[91:92], -0.5, v[81:82]
	v_add_f64 v[34:35], v[12:13], v[34:35]
	v_add_f64 v[62:63], v[87:88], v[62:63]
	v_fma_f64 v[2:3], v[103:104], -0.5, v[2:3]
	v_add_f64 v[79:80], v[115:116], -v[18:19]
	v_fma_f64 v[4:5], v[109:110], -0.5, v[4:5]
	v_fma_f64 v[12:13], v[124:125], -0.5, v[12:13]
	;; [unrolled: 1-line block ×3, first 2 shown]
	v_add_f64 v[89:90], v[117:118], -v[113:114]
	v_fma_f64 v[87:88], v[132:133], -0.5, v[87:88]
	v_add_f64 v[6:7], v[83:84], v[6:7]
	v_add_f64 v[16:17], v[97:98], v[16:17]
	;; [unrolled: 1-line block ×7, first 2 shown]
	v_fma_f64 v[91:92], v[85:86], s[0:1], v[64:65]
	v_fma_f64 v[64:65], v[85:86], s[2:3], v[64:65]
	;; [unrolled: 1-line block ×12, first 2 shown]
	v_add_f64 v[36:37], v[54:55], v[56:57]
	v_add_f64 v[68:69], v[70:71], v[93:94]
	v_fma_f64 v[54:55], v[48:49], s[2:3], v[81:82]
	v_fma_f64 v[56:57], v[48:49], s[0:1], v[81:82]
	v_add_f64 v[70:71], v[72:73], v[99:100]
	v_add_f64 v[34:35], v[34:35], v[38:39]
	v_add_f64 v[38:39], v[62:63], v[44:45]
	v_fma_f64 v[62:63], v[58:59], s[2:3], v[2:3]
	v_fma_f64 v[58:59], v[58:59], s[0:1], v[2:3]
	;; [unrolled: 1-line block ×4, first 2 shown]
	v_add3_u32 v107, 0, v137, v136
	v_fma_f64 v[99:100], v[26:27], s[2:3], v[14:15]
	v_fma_f64 v[79:80], v[79:80], s[0:1], v[4:5]
	;; [unrolled: 1-line block ×5, first 2 shown]
	v_add_nc_u32_e32 v108, 0x1800, v138
	v_add_nc_u32_e32 v109, 0x1800, v107
	v_fma_f64 v[87:88], v[89:90], s[0:1], v[87:88]
	ds_store_2addr_b64 v135, v[6:7], v[16:17] offset1:66
	ds_store_2addr_b64 v60, v[91:92], v[64:65] offset0:4 offset1:136
	ds_store_2addr_b64 v60, v[85:86], v[8:9] offset0:70 offset1:202
	;; [unrolled: 1-line block ×5, first 2 shown]
	ds_store_b64 v135, v[10:11] offset:5280
	ds_store_b64 v135, v[20:21] offset:5808
	ds_store_b64 v138, v[22:23] offset:8448
	ds_store_2addr_b64 v109, v[83:84], v[66:67] offset0:24 offset1:156
	ds_store_b64 v107, v[0:1] offset:8448
	s_waitcnt lgkmcnt(0)
	s_barrier
	buffer_gl0_inv
	ds_load_2addr_b64 v[0:3], v78 offset0:74 offset1:140
	ds_load_2addr_b64 v[12:15], v75 offset0:86 offset1:152
	;; [unrolled: 1-line block ×8, first 2 shown]
	ds_load_b64 v[44:45], v134
	ds_load_b64 v[48:49], v135 offset:8976
	s_waitcnt lgkmcnt(0)
	s_barrier
	buffer_gl0_inv
	ds_store_2addr_b64 v60, v[54:55], v[56:57] offset0:4 offset1:136
	ds_store_2addr_b64 v135, v[68:69], v[70:71] offset1:66
	ds_store_2addr_b64 v60, v[62:63], v[58:59] offset0:70 offset1:202
	ds_store_2addr_b64 v74, v[32:33], v[72:73] offset0:12 offset1:144
	;; [unrolled: 1-line block ×4, first 2 shown]
	ds_store_b64 v135, v[79:80] offset:5280
	ds_store_b64 v135, v[93:94] offset:5808
	;; [unrolled: 1-line block ×3, first 2 shown]
	ds_store_2addr_b64 v109, v[38:39], v[105:106] offset0:24 offset1:156
	ds_store_b64 v107, v[87:88] offset:8448
	s_waitcnt lgkmcnt(0)
	s_barrier
	buffer_gl0_inv
	s_and_saveexec_b32 s6, vcc_lo
	s_cbranch_execz .LBB0_20
; %bb.19:
	v_lshlrev_b32_e32 v118, 1, v50
	v_add_nc_u32_e32 v114, 0x1000, v135
	v_mul_hi_u32 v152, 0xa57eb503, v52
	v_add_nc_u32_e32 v126, 0x400, v135
	v_mul_hi_u32 v153, 0xa57eb503, v51
	v_lshlrev_b64 v[32:33], 4, v[118:119]
	v_lshlrev_b32_e32 v118, 1, v51
	v_mul_hi_u32 v156, 0xa57eb503, v50
	v_lshrrev_b32_e32 v157, 8, v152
	s_delay_alu instid0(VALU_DEP_4) | instskip(SKIP_2) | instid1(VALU_DEP_3)
	v_add_co_u32 v34, vcc_lo, s4, v32
	v_add_co_ci_u32_e32 v35, vcc_lo, s5, v33, vcc_lo
	v_lshlrev_b64 v[32:33], 4, v[118:119]
	v_add_co_u32 v36, vcc_lo, 0x1860, v34
	s_delay_alu instid0(VALU_DEP_3)
	v_add_co_ci_u32_e32 v37, vcc_lo, 0, v35, vcc_lo
	v_add_co_u32 v34, vcc_lo, 0x1000, v34
	v_add_co_ci_u32_e32 v35, vcc_lo, 0, v35, vcc_lo
	v_add_co_u32 v56, vcc_lo, s4, v32
	v_lshlrev_b32_e32 v118, 1, v52
	v_add_co_ci_u32_e32 v57, vcc_lo, s5, v33, vcc_lo
	s_delay_alu instid0(VALU_DEP_3) | instskip(NEXT) | instid1(VALU_DEP_3)
	v_add_co_u32 v58, vcc_lo, 0x1860, v56
	v_lshlrev_b64 v[54:55], 4, v[118:119]
	s_delay_alu instid0(VALU_DEP_3) | instskip(SKIP_2) | instid1(VALU_DEP_4)
	v_add_co_ci_u32_e32 v59, vcc_lo, 0, v57, vcc_lo
	v_add_co_u32 v56, vcc_lo, 0x1000, v56
	v_add_co_ci_u32_e32 v57, vcc_lo, 0, v57, vcc_lo
	v_add_co_u32 v62, vcc_lo, s4, v54
	v_add_co_ci_u32_e32 v63, vcc_lo, s5, v55, vcc_lo
	v_lshlrev_b32_e32 v118, 1, v53
	s_delay_alu instid0(VALU_DEP_3) | instskip(NEXT) | instid1(VALU_DEP_3)
	v_add_co_u32 v82, vcc_lo, 0x1860, v62
	v_add_co_ci_u32_e32 v83, vcc_lo, 0, v63, vcc_lo
	v_add_co_u32 v78, vcc_lo, 0x1000, v62
	v_add_co_ci_u32_e32 v79, vcc_lo, 0, v63, vcc_lo
	;; [unrolled: 2-line block ×4, first 2 shown]
	v_lshlrev_b64 v[62:63], 4, v[118:119]
	v_add_co_u32 v74, vcc_lo, 0x1860, v42
	v_add_co_ci_u32_e32 v75, vcc_lo, 0, v43, vcc_lo
	v_add_co_u32 v42, vcc_lo, 0x1000, v42
	v_add_co_ci_u32_e32 v43, vcc_lo, 0, v43, vcc_lo
	;; [unrolled: 2-line block ×3, first 2 shown]
	s_clause 0x7
	global_load_b128 v[32:35], v[34:35], off offset:2144
	global_load_b128 v[36:39], v[36:37], off offset:16
	;; [unrolled: 1-line block ×8, first 2 shown]
	v_add_co_u32 v42, vcc_lo, 0x1860, v80
	v_add_co_ci_u32_e32 v43, vcc_lo, 0, v81, vcc_lo
	v_add_co_u32 v46, vcc_lo, 0x1000, v80
	v_add_co_ci_u32_e32 v47, vcc_lo, 0, v81, vcc_lo
	s_clause 0x3
	global_load_b128 v[78:81], v[78:79], off offset:2144
	global_load_b128 v[82:85], v[82:83], off offset:16
	;; [unrolled: 1-line block ×4, first 2 shown]
	v_add_nc_u32_e32 v42, 0xc00, v135
	v_add_nc_u32_e32 v43, 0x1800, v135
	;; [unrolled: 1-line block ×3, first 2 shown]
	ds_load_2addr_b64 v[94:97], v42 offset0:78 offset1:144
	ds_load_2addr_b64 v[98:101], v43 offset0:90 offset1:156
	v_add_nc_u32_e32 v46, 0x1400, v135
	v_add_nc_u32_e32 v118, 0x1c00, v135
	ds_load_2addr_b64 v[102:105], v47 offset0:74 offset1:140
	ds_load_2addr_b64 v[106:109], v46 offset0:86 offset1:152
	;; [unrolled: 1-line block ×3, first 2 shown]
	ds_load_b64 v[42:43], v135 offset:8976
	ds_load_b64 v[46:47], v134
	ds_load_2addr_b64 v[114:117], v114 offset0:82 offset1:148
	ds_load_2addr_b64 v[122:125], v118 offset0:94 offset1:160
	v_add_co_u32 v154, vcc_lo, s8, v120
	v_add_co_ci_u32_e32 v155, vcc_lo, s9, v121, vcc_lo
	v_mul_hi_u32 v118, 0xa57eb503, v53
	s_delay_alu instid0(VALU_DEP_3) | instskip(NEXT) | instid1(VALU_DEP_3)
	v_add_co_u32 v150, vcc_lo, v154, v40
	v_add_co_ci_u32_e32 v151, vcc_lo, v155, v41, vcc_lo
	v_lshrrev_b32_e32 v158, 8, v153
	s_delay_alu instid0(VALU_DEP_3) | instskip(SKIP_1) | instid1(VALU_DEP_4)
	v_add_co_u32 v152, vcc_lo, 0x1000, v150
	v_lshrrev_b32_e32 v118, 8, v118
	v_add_co_ci_u32_e32 v153, vcc_lo, 0, v151, vcc_lo
	v_lshrrev_b32_e32 v156, 8, v156
	ds_load_2addr_b64 v[126:129], v126 offset0:70 offset1:136
	v_mul_u32_u24_e32 v118, 0x318, v118
	s_waitcnt vmcnt(11)
	v_mul_f64 v[134:135], v[12:13], v[34:35]
	s_waitcnt vmcnt(7) lgkmcnt(9)
	v_mul_f64 v[52:53], v[94:95], v[64:65]
	s_waitcnt vmcnt(6) lgkmcnt(8)
	v_mul_f64 v[120:121], v[98:99], v[68:69]
	v_mul_f64 v[64:65], v[28:29], v[64:65]
	;; [unrolled: 1-line block ×3, first 2 shown]
	s_waitcnt vmcnt(5) lgkmcnt(7)
	v_mul_f64 v[130:131], v[104:105], v[72:73]
	s_waitcnt vmcnt(4) lgkmcnt(6)
	v_mul_f64 v[132:133], v[108:109], v[76:77]
	v_mul_f64 v[72:73], v[2:3], v[72:73]
	;; [unrolled: 1-line block ×4, first 2 shown]
	s_waitcnt vmcnt(3) lgkmcnt(2)
	v_mul_f64 v[142:143], v[114:115], v[80:81]
	s_waitcnt vmcnt(2) lgkmcnt(1)
	v_mul_f64 v[144:145], v[122:123], v[84:85]
	v_mul_f64 v[80:81], v[16:17], v[80:81]
	;; [unrolled: 1-line block ×3, first 2 shown]
	s_waitcnt vmcnt(1)
	v_mul_f64 v[146:147], v[96:97], v[88:89]
	s_waitcnt vmcnt(0)
	v_mul_f64 v[148:149], v[100:101], v[92:93]
	v_mul_f64 v[88:89], v[30:31], v[88:89]
	;; [unrolled: 1-line block ×9, first 2 shown]
	v_lshlrev_b64 v[60:61], 4, v[118:119]
	v_mul_u32_u24_e32 v118, 0x318, v157
	v_fma_f64 v[28:29], v[28:29], v[62:63], -v[52:53]
	v_fma_f64 v[24:25], v[24:25], v[66:67], -v[120:121]
	v_fma_f64 v[52:53], v[62:63], v[94:95], v[64:65]
	v_fma_f64 v[62:63], v[66:67], v[98:99], v[68:69]
	v_fma_f64 v[2:3], v[2:3], v[70:71], -v[130:131]
	v_fma_f64 v[14:15], v[14:15], v[74:75], -v[132:133]
	v_fma_f64 v[64:65], v[70:71], v[104:105], v[72:73]
	v_fma_f64 v[66:67], v[74:75], v[108:109], v[76:77]
	;; [unrolled: 1-line block ×3, first 2 shown]
	v_fma_f64 v[16:17], v[16:17], v[78:79], -v[142:143]
	v_fma_f64 v[20:21], v[20:21], v[82:83], -v[144:145]
	v_fma_f64 v[74:75], v[78:79], v[114:115], v[80:81]
	v_fma_f64 v[76:77], v[82:83], v[122:123], v[84:85]
	v_fma_f64 v[30:31], v[30:31], v[86:87], -v[146:147]
	v_fma_f64 v[26:27], v[26:27], v[90:91], -v[148:149]
	v_fma_f64 v[78:79], v[86:87], v[96:97], v[88:89]
	v_fma_f64 v[80:81], v[90:91], v[100:101], v[92:93]
	;; [unrolled: 1-line block ×5, first 2 shown]
	v_fma_f64 v[18:19], v[18:19], v[54:55], -v[40:41]
	v_fma_f64 v[22:23], v[22:23], v[58:59], -v[56:57]
	;; [unrolled: 1-line block ×4, first 2 shown]
	v_add_co_u32 v82, vcc_lo, 0x3000, v150
	v_add_co_ci_u32_e32 v83, vcc_lo, 0, v151, vcc_lo
	v_add_co_u32 v86, vcc_lo, v150, v60
	v_add_co_ci_u32_e32 v87, vcc_lo, v151, v61, vcc_lo
	v_lshlrev_b64 v[84:85], 4, v[118:119]
	v_mad_u32_u24 v118, 0x318, v158, v51
	s_delay_alu instid0(VALU_DEP_4) | instskip(NEXT) | instid1(VALU_DEP_4)
	v_add_co_u32 v88, vcc_lo, 0x2000, v86
	v_add_co_ci_u32_e32 v89, vcc_lo, 0, v87, vcc_lo
	s_delay_alu instid0(VALU_DEP_3)
	v_lshlrev_b64 v[34:35], 4, v[118:119]
	v_add_f64 v[38:39], v[28:29], v[24:25]
	v_mad_u32_u24 v118, 0x318, v156, v50
	v_add_f64 v[36:37], v[52:53], v[62:63]
	v_add_f64 v[116:117], v[44:45], v[2:3]
	v_add_f64 v[48:49], v[2:3], v[14:15]
	v_add_f64 v[114:115], v[64:65], v[46:47]
	v_add_f64 v[40:41], v[64:65], v[66:67]
	v_add_f64 v[98:99], v[28:29], -v[24:25]
	v_add_f64 v[104:105], v[52:53], v[110:111]
	v_add_f64 v[60:61], v[16:17], v[20:21]
	;; [unrolled: 1-line block ×4, first 2 shown]
	v_add_f64 v[52:53], v[52:53], -v[62:63]
	v_add_f64 v[94:95], v[30:31], v[26:27]
	v_add_f64 v[108:109], v[2:3], -v[14:15]
	v_add_f64 v[58:59], v[78:79], v[80:81]
	v_add_f64 v[50:51], v[68:69], v[42:43]
	v_add_f64 v[64:65], v[64:65], -v[66:67]
	v_add_f64 v[54:55], v[70:71], v[72:73]
	v_add_f64 v[132:133], v[4:5], v[16:17]
	;; [unrolled: 1-line block ×5, first 2 shown]
	v_lshlrev_b64 v[92:93], 4, v[118:119]
	v_add_f64 v[118:119], v[12:13], -v[32:33]
	v_add_f64 v[12:13], v[0:1], v[12:13]
	v_add_f64 v[122:123], v[18:19], -v[22:23]
	v_add_f64 v[18:19], v[6:7], v[18:19]
	v_add_f64 v[134:135], v[78:79], v[112:113]
	s_waitcnt lgkmcnt(0)
	v_add_f64 v[130:131], v[74:75], v[126:127]
	v_add_f64 v[138:139], v[30:31], -v[26:27]
	v_add_f64 v[74:75], v[74:75], -v[76:77]
	v_add_f64 v[124:125], v[70:71], v[128:129]
	v_add_f64 v[120:121], v[68:69], v[102:103]
	v_add_f64 v[70:71], v[70:71], -v[72:73]
	v_add_co_u32 v90, vcc_lo, 0x3000, v86
	v_add_co_ci_u32_e32 v91, vcc_lo, 0, v87, vcc_lo
	v_fma_f64 v[38:39], v[38:39], -0.5, v[8:9]
	v_fma_f64 v[36:37], v[36:37], -0.5, v[110:111]
	v_add_f64 v[110:111], v[16:17], -v[20:21]
	v_fma_f64 v[44:45], v[48:49], -0.5, v[44:45]
	v_add_f64 v[48:49], v[78:79], -v[80:81]
	v_fma_f64 v[40:41], v[40:41], -0.5, v[46:47]
	v_add_co_u32 v84, vcc_lo, v150, v84
	v_add_co_ci_u32_e32 v85, vcc_lo, v151, v85, vcc_lo
	v_fma_f64 v[126:127], v[56:57], -0.5, v[126:127]
	s_delay_alu instid0(VALU_DEP_3) | instskip(NEXT) | instid1(VALU_DEP_3)
	v_add_co_u32 v96, vcc_lo, 0x2000, v84
	v_add_co_ci_u32_e32 v97, vcc_lo, 0, v85, vcc_lo
	v_fma_f64 v[56:57], v[58:59], -0.5, v[112:113]
	v_fma_f64 v[112:113], v[60:61], -0.5, v[4:5]
	;; [unrolled: 1-line block ×6, first 2 shown]
	v_add_f64 v[128:129], v[68:69], -v[42:43]
	v_fma_f64 v[106:107], v[106:107], -0.5, v[0:1]
	v_add_co_u32 v94, vcc_lo, 0x3000, v84
	v_add_f64 v[6:7], v[114:115], v[66:67]
	v_add_f64 v[4:5], v[116:117], v[14:15]
	v_add_co_ci_u32_e32 v95, vcc_lo, 0, v85, vcc_lo
	v_add_f64 v[2:3], v[62:63], v[104:105]
	v_add_f64 v[0:1], v[28:29], v[24:25]
	v_add_co_u32 v140, vcc_lo, v154, v34
	v_add_f64 v[16:17], v[132:133], v[20:21]
	v_add_f64 v[20:21], v[136:137], v[26:27]
	v_add_co_ci_u32_e32 v141, vcc_lo, v155, v35, vcc_lo
	v_add_f64 v[8:9], v[12:13], v[32:33]
	v_fma_f64 v[24:25], v[52:53], s[2:3], v[38:39]
	v_fma_f64 v[26:27], v[98:99], s[0:1], v[36:37]
	v_fma_f64 v[30:31], v[98:99], s[2:3], v[36:37]
	v_fma_f64 v[28:29], v[52:53], s[0:1], v[38:39]
	v_fma_f64 v[36:37], v[64:65], s[0:1], v[44:45]
	v_fma_f64 v[38:39], v[108:109], s[2:3], v[40:41]
	v_fma_f64 v[34:35], v[108:109], s[0:1], v[40:41]
	v_fma_f64 v[32:33], v[64:65], s[2:3], v[44:45]
	v_add_f64 v[12:13], v[18:19], v[22:23]
	v_add_f64 v[22:23], v[80:81], v[134:135]
	;; [unrolled: 1-line block ×3, first 2 shown]
	v_fma_f64 v[62:63], v[110:111], s[2:3], v[126:127]
	v_fma_f64 v[50:51], v[110:111], s[0:1], v[126:127]
	v_add_f64 v[14:15], v[72:73], v[124:125]
	v_add_f64 v[10:11], v[42:43], v[120:121]
	v_fma_f64 v[54:55], v[138:139], s[0:1], v[56:57]
	v_fma_f64 v[58:59], v[138:139], s[2:3], v[56:57]
	;; [unrolled: 1-line block ×14, first 2 shown]
	v_add_co_u32 v72, vcc_lo, 0x1000, v140
	v_add_co_ci_u32_e32 v73, vcc_lo, 0, v141, vcc_lo
	v_add_co_u32 v74, vcc_lo, v154, v92
	v_add_co_ci_u32_e32 v75, vcc_lo, v155, v93, vcc_lo
	;; [unrolled: 2-line block ×3, first 2 shown]
	s_delay_alu instid0(VALU_DEP_4) | instskip(NEXT) | instid1(VALU_DEP_4)
	v_add_co_u32 v78, vcc_lo, 0x1000, v74
	v_add_co_ci_u32_e32 v79, vcc_lo, 0, v75, vcc_lo
	v_add_co_u32 v80, vcc_lo, 0x3000, v74
	v_add_co_ci_u32_e32 v81, vcc_lo, 0, v75, vcc_lo
	s_clause 0x11
	global_store_b128 v[150:151], v[4:7], off
	global_store_b128 v[150:151], v[0:3], off offset:1056
	global_store_b128 v[152:153], v[36:39], off offset:2240
	global_store_b128 v[152:153], v[28:31], off offset:3296
	global_store_b128 v[82:83], v[32:35], off offset:384
	global_store_b128 v[82:83], v[24:27], off offset:1440
	global_store_b128 v[86:87], v[20:23], off offset:2112
	global_store_b128 v[88:89], v[56:59], off offset:256
	global_store_b128 v[90:91], v[52:55], off offset:2496
	global_store_b128 v[84:85], v[16:19], off offset:3168
	global_store_b128 v[96:97], v[60:63], off offset:1312
	global_store_b128 v[94:95], v[48:51], off offset:3552
	global_store_b128 v[140:141], v[12:15], off
	global_store_b128 v[72:73], v[64:67], off offset:2240
	global_store_b128 v[76:77], v[44:47], off offset:384
	global_store_b128 v[74:75], v[8:11], off
	global_store_b128 v[78:79], v[68:71], off offset:2240
	global_store_b128 v[80:81], v[40:43], off offset:384
.LBB0_20:
	s_nop 0
	s_sendmsg sendmsg(MSG_DEALLOC_VGPRS)
	s_endpgm
	.section	.rodata,"a",@progbits
	.p2align	6, 0x0
	.amdhsa_kernel fft_rtc_fwd_len1188_factors_6_11_2_3_3_wgs_198_tpt_66_halfLds_dp_ip_CI_unitstride_sbrr_dirReg
		.amdhsa_group_segment_fixed_size 0
		.amdhsa_private_segment_fixed_size 0
		.amdhsa_kernarg_size 88
		.amdhsa_user_sgpr_count 15
		.amdhsa_user_sgpr_dispatch_ptr 0
		.amdhsa_user_sgpr_queue_ptr 0
		.amdhsa_user_sgpr_kernarg_segment_ptr 1
		.amdhsa_user_sgpr_dispatch_id 0
		.amdhsa_user_sgpr_private_segment_size 0
		.amdhsa_wavefront_size32 1
		.amdhsa_uses_dynamic_stack 0
		.amdhsa_enable_private_segment 0
		.amdhsa_system_sgpr_workgroup_id_x 1
		.amdhsa_system_sgpr_workgroup_id_y 0
		.amdhsa_system_sgpr_workgroup_id_z 0
		.amdhsa_system_sgpr_workgroup_info 0
		.amdhsa_system_vgpr_workitem_id 0
		.amdhsa_next_free_vgpr 194
		.amdhsa_next_free_sgpr 36
		.amdhsa_reserve_vcc 1
		.amdhsa_float_round_mode_32 0
		.amdhsa_float_round_mode_16_64 0
		.amdhsa_float_denorm_mode_32 3
		.amdhsa_float_denorm_mode_16_64 3
		.amdhsa_dx10_clamp 1
		.amdhsa_ieee_mode 1
		.amdhsa_fp16_overflow 0
		.amdhsa_workgroup_processor_mode 1
		.amdhsa_memory_ordered 1
		.amdhsa_forward_progress 0
		.amdhsa_shared_vgpr_count 0
		.amdhsa_exception_fp_ieee_invalid_op 0
		.amdhsa_exception_fp_denorm_src 0
		.amdhsa_exception_fp_ieee_div_zero 0
		.amdhsa_exception_fp_ieee_overflow 0
		.amdhsa_exception_fp_ieee_underflow 0
		.amdhsa_exception_fp_ieee_inexact 0
		.amdhsa_exception_int_div_zero 0
	.end_amdhsa_kernel
	.text
.Lfunc_end0:
	.size	fft_rtc_fwd_len1188_factors_6_11_2_3_3_wgs_198_tpt_66_halfLds_dp_ip_CI_unitstride_sbrr_dirReg, .Lfunc_end0-fft_rtc_fwd_len1188_factors_6_11_2_3_3_wgs_198_tpt_66_halfLds_dp_ip_CI_unitstride_sbrr_dirReg
                                        ; -- End function
	.section	.AMDGPU.csdata,"",@progbits
; Kernel info:
; codeLenInByte = 15792
; NumSgprs: 38
; NumVgprs: 194
; ScratchSize: 0
; MemoryBound: 1
; FloatMode: 240
; IeeeMode: 1
; LDSByteSize: 0 bytes/workgroup (compile time only)
; SGPRBlocks: 4
; VGPRBlocks: 24
; NumSGPRsForWavesPerEU: 38
; NumVGPRsForWavesPerEU: 194
; Occupancy: 7
; WaveLimiterHint : 1
; COMPUTE_PGM_RSRC2:SCRATCH_EN: 0
; COMPUTE_PGM_RSRC2:USER_SGPR: 15
; COMPUTE_PGM_RSRC2:TRAP_HANDLER: 0
; COMPUTE_PGM_RSRC2:TGID_X_EN: 1
; COMPUTE_PGM_RSRC2:TGID_Y_EN: 0
; COMPUTE_PGM_RSRC2:TGID_Z_EN: 0
; COMPUTE_PGM_RSRC2:TIDIG_COMP_CNT: 0
	.text
	.p2alignl 7, 3214868480
	.fill 96, 4, 3214868480
	.type	__hip_cuid_40a3724f65c47889,@object ; @__hip_cuid_40a3724f65c47889
	.section	.bss,"aw",@nobits
	.globl	__hip_cuid_40a3724f65c47889
__hip_cuid_40a3724f65c47889:
	.byte	0                               ; 0x0
	.size	__hip_cuid_40a3724f65c47889, 1

	.ident	"AMD clang version 19.0.0git (https://github.com/RadeonOpenCompute/llvm-project roc-6.4.0 25133 c7fe45cf4b819c5991fe208aaa96edf142730f1d)"
	.section	".note.GNU-stack","",@progbits
	.addrsig
	.addrsig_sym __hip_cuid_40a3724f65c47889
	.amdgpu_metadata
---
amdhsa.kernels:
  - .args:
      - .actual_access:  read_only
        .address_space:  global
        .offset:         0
        .size:           8
        .value_kind:     global_buffer
      - .offset:         8
        .size:           8
        .value_kind:     by_value
      - .actual_access:  read_only
        .address_space:  global
        .offset:         16
        .size:           8
        .value_kind:     global_buffer
      - .actual_access:  read_only
        .address_space:  global
        .offset:         24
        .size:           8
        .value_kind:     global_buffer
      - .offset:         32
        .size:           8
        .value_kind:     by_value
      - .actual_access:  read_only
        .address_space:  global
        .offset:         40
        .size:           8
        .value_kind:     global_buffer
      - .actual_access:  read_only
        .address_space:  global
        .offset:         48
        .size:           8
        .value_kind:     global_buffer
      - .offset:         56
        .size:           4
        .value_kind:     by_value
      - .actual_access:  read_only
        .address_space:  global
        .offset:         64
        .size:           8
        .value_kind:     global_buffer
      - .actual_access:  read_only
        .address_space:  global
        .offset:         72
        .size:           8
        .value_kind:     global_buffer
      - .address_space:  global
        .offset:         80
        .size:           8
        .value_kind:     global_buffer
    .group_segment_fixed_size: 0
    .kernarg_segment_align: 8
    .kernarg_segment_size: 88
    .language:       OpenCL C
    .language_version:
      - 2
      - 0
    .max_flat_workgroup_size: 198
    .name:           fft_rtc_fwd_len1188_factors_6_11_2_3_3_wgs_198_tpt_66_halfLds_dp_ip_CI_unitstride_sbrr_dirReg
    .private_segment_fixed_size: 0
    .sgpr_count:     38
    .sgpr_spill_count: 0
    .symbol:         fft_rtc_fwd_len1188_factors_6_11_2_3_3_wgs_198_tpt_66_halfLds_dp_ip_CI_unitstride_sbrr_dirReg.kd
    .uniform_work_group_size: 1
    .uses_dynamic_stack: false
    .vgpr_count:     194
    .vgpr_spill_count: 0
    .wavefront_size: 32
    .workgroup_processor_mode: 1
amdhsa.target:   amdgcn-amd-amdhsa--gfx1100
amdhsa.version:
  - 1
  - 2
...

	.end_amdgpu_metadata
